;; amdgpu-corpus repo=ROCm/rocFFT kind=compiled arch=gfx1030 opt=O3
	.text
	.amdgcn_target "amdgcn-amd-amdhsa--gfx1030"
	.amdhsa_code_object_version 6
	.protected	fft_rtc_back_len4050_factors_10_5_3_3_3_3_wgs_135_tpt_135_halfLds_sp_ip_CI_sbrr_dirReg ; -- Begin function fft_rtc_back_len4050_factors_10_5_3_3_3_3_wgs_135_tpt_135_halfLds_sp_ip_CI_sbrr_dirReg
	.globl	fft_rtc_back_len4050_factors_10_5_3_3_3_3_wgs_135_tpt_135_halfLds_sp_ip_CI_sbrr_dirReg
	.p2align	8
	.type	fft_rtc_back_len4050_factors_10_5_3_3_3_3_wgs_135_tpt_135_halfLds_sp_ip_CI_sbrr_dirReg,@function
fft_rtc_back_len4050_factors_10_5_3_3_3_3_wgs_135_tpt_135_halfLds_sp_ip_CI_sbrr_dirReg: ; @fft_rtc_back_len4050_factors_10_5_3_3_3_3_wgs_135_tpt_135_halfLds_sp_ip_CI_sbrr_dirReg
; %bb.0:
	s_clause 0x2
	s_load_dwordx2 s[14:15], s[4:5], 0x18
	s_load_dwordx4 s[8:11], s[4:5], 0x0
	s_load_dwordx2 s[12:13], s[4:5], 0x50
	v_mul_u32_u24_e32 v1, 0x1e6, v0
	v_mov_b32_e32 v3, 0
	v_add_nc_u32_sdwa v5, s6, v1 dst_sel:DWORD dst_unused:UNUSED_PAD src0_sel:DWORD src1_sel:WORD_1
	v_mov_b32_e32 v1, 0
	v_mov_b32_e32 v6, v3
	v_mov_b32_e32 v2, 0
	s_waitcnt lgkmcnt(0)
	s_load_dwordx2 s[2:3], s[14:15], 0x0
	v_cmp_lt_u64_e64 s0, s[10:11], 2
	s_and_b32 vcc_lo, exec_lo, s0
	s_cbranch_vccnz .LBB0_8
; %bb.1:
	s_load_dwordx2 s[0:1], s[4:5], 0x10
	v_mov_b32_e32 v1, 0
	s_add_u32 s6, s14, 8
	v_mov_b32_e32 v2, 0
	s_addc_u32 s7, s15, 0
	s_mov_b64 s[18:19], 1
	s_waitcnt lgkmcnt(0)
	s_add_u32 s16, s0, 8
	s_addc_u32 s17, s1, 0
.LBB0_2:                                ; =>This Inner Loop Header: Depth=1
	s_load_dwordx2 s[20:21], s[16:17], 0x0
                                        ; implicit-def: $vgpr7_vgpr8
	s_mov_b32 s0, exec_lo
	s_waitcnt lgkmcnt(0)
	v_or_b32_e32 v4, s21, v6
	v_cmpx_ne_u64_e32 0, v[3:4]
	s_xor_b32 s1, exec_lo, s0
	s_cbranch_execz .LBB0_4
; %bb.3:                                ;   in Loop: Header=BB0_2 Depth=1
	v_cvt_f32_u32_e32 v4, s20
	v_cvt_f32_u32_e32 v7, s21
	s_sub_u32 s0, 0, s20
	s_subb_u32 s22, 0, s21
	v_fmac_f32_e32 v4, 0x4f800000, v7
	v_rcp_f32_e32 v4, v4
	v_mul_f32_e32 v4, 0x5f7ffffc, v4
	v_mul_f32_e32 v7, 0x2f800000, v4
	v_trunc_f32_e32 v7, v7
	v_fmac_f32_e32 v4, 0xcf800000, v7
	v_cvt_u32_f32_e32 v7, v7
	v_cvt_u32_f32_e32 v4, v4
	v_mul_lo_u32 v8, s0, v7
	v_mul_hi_u32 v9, s0, v4
	v_mul_lo_u32 v10, s22, v4
	v_add_nc_u32_e32 v8, v9, v8
	v_mul_lo_u32 v9, s0, v4
	v_add_nc_u32_e32 v8, v8, v10
	v_mul_hi_u32 v10, v4, v9
	v_mul_lo_u32 v11, v4, v8
	v_mul_hi_u32 v12, v4, v8
	v_mul_hi_u32 v13, v7, v9
	v_mul_lo_u32 v9, v7, v9
	v_mul_hi_u32 v14, v7, v8
	v_mul_lo_u32 v8, v7, v8
	v_add_co_u32 v10, vcc_lo, v10, v11
	v_add_co_ci_u32_e32 v11, vcc_lo, 0, v12, vcc_lo
	v_add_co_u32 v9, vcc_lo, v10, v9
	v_add_co_ci_u32_e32 v9, vcc_lo, v11, v13, vcc_lo
	v_add_co_ci_u32_e32 v10, vcc_lo, 0, v14, vcc_lo
	v_add_co_u32 v8, vcc_lo, v9, v8
	v_add_co_ci_u32_e32 v9, vcc_lo, 0, v10, vcc_lo
	v_add_co_u32 v4, vcc_lo, v4, v8
	v_add_co_ci_u32_e32 v7, vcc_lo, v7, v9, vcc_lo
	v_mul_hi_u32 v8, s0, v4
	v_mul_lo_u32 v10, s22, v4
	v_mul_lo_u32 v9, s0, v7
	v_add_nc_u32_e32 v8, v8, v9
	v_mul_lo_u32 v9, s0, v4
	v_add_nc_u32_e32 v8, v8, v10
	v_mul_hi_u32 v10, v4, v9
	v_mul_lo_u32 v11, v4, v8
	v_mul_hi_u32 v12, v4, v8
	v_mul_hi_u32 v13, v7, v9
	v_mul_lo_u32 v9, v7, v9
	v_mul_hi_u32 v14, v7, v8
	v_mul_lo_u32 v8, v7, v8
	v_add_co_u32 v10, vcc_lo, v10, v11
	v_add_co_ci_u32_e32 v11, vcc_lo, 0, v12, vcc_lo
	v_add_co_u32 v9, vcc_lo, v10, v9
	v_add_co_ci_u32_e32 v9, vcc_lo, v11, v13, vcc_lo
	v_add_co_ci_u32_e32 v10, vcc_lo, 0, v14, vcc_lo
	v_add_co_u32 v8, vcc_lo, v9, v8
	v_add_co_ci_u32_e32 v9, vcc_lo, 0, v10, vcc_lo
	v_add_co_u32 v4, vcc_lo, v4, v8
	v_add_co_ci_u32_e32 v11, vcc_lo, v7, v9, vcc_lo
	v_mul_hi_u32 v13, v5, v4
	v_mad_u64_u32 v[9:10], null, v6, v4, 0
	v_mad_u64_u32 v[7:8], null, v5, v11, 0
	;; [unrolled: 1-line block ×3, first 2 shown]
	v_add_co_u32 v4, vcc_lo, v13, v7
	v_add_co_ci_u32_e32 v7, vcc_lo, 0, v8, vcc_lo
	v_add_co_u32 v4, vcc_lo, v4, v9
	v_add_co_ci_u32_e32 v4, vcc_lo, v7, v10, vcc_lo
	v_add_co_ci_u32_e32 v7, vcc_lo, 0, v12, vcc_lo
	v_add_co_u32 v4, vcc_lo, v4, v11
	v_add_co_ci_u32_e32 v9, vcc_lo, 0, v7, vcc_lo
	v_mul_lo_u32 v10, s21, v4
	v_mad_u64_u32 v[7:8], null, s20, v4, 0
	v_mul_lo_u32 v11, s20, v9
	v_sub_co_u32 v7, vcc_lo, v5, v7
	v_add3_u32 v8, v8, v11, v10
	v_sub_nc_u32_e32 v10, v6, v8
	v_subrev_co_ci_u32_e64 v10, s0, s21, v10, vcc_lo
	v_add_co_u32 v11, s0, v4, 2
	v_add_co_ci_u32_e64 v12, s0, 0, v9, s0
	v_sub_co_u32 v13, s0, v7, s20
	v_sub_co_ci_u32_e32 v8, vcc_lo, v6, v8, vcc_lo
	v_subrev_co_ci_u32_e64 v10, s0, 0, v10, s0
	v_cmp_le_u32_e32 vcc_lo, s20, v13
	v_cmp_eq_u32_e64 s0, s21, v8
	v_cndmask_b32_e64 v13, 0, -1, vcc_lo
	v_cmp_le_u32_e32 vcc_lo, s21, v10
	v_cndmask_b32_e64 v14, 0, -1, vcc_lo
	v_cmp_le_u32_e32 vcc_lo, s20, v7
	;; [unrolled: 2-line block ×3, first 2 shown]
	v_cndmask_b32_e64 v15, 0, -1, vcc_lo
	v_cmp_eq_u32_e32 vcc_lo, s21, v10
	v_cndmask_b32_e64 v7, v15, v7, s0
	v_cndmask_b32_e32 v10, v14, v13, vcc_lo
	v_add_co_u32 v13, vcc_lo, v4, 1
	v_add_co_ci_u32_e32 v14, vcc_lo, 0, v9, vcc_lo
	v_cmp_ne_u32_e32 vcc_lo, 0, v10
	v_cndmask_b32_e32 v8, v14, v12, vcc_lo
	v_cndmask_b32_e32 v10, v13, v11, vcc_lo
	v_cmp_ne_u32_e32 vcc_lo, 0, v7
	v_cndmask_b32_e32 v8, v9, v8, vcc_lo
	v_cndmask_b32_e32 v7, v4, v10, vcc_lo
.LBB0_4:                                ;   in Loop: Header=BB0_2 Depth=1
	s_andn2_saveexec_b32 s0, s1
	s_cbranch_execz .LBB0_6
; %bb.5:                                ;   in Loop: Header=BB0_2 Depth=1
	v_cvt_f32_u32_e32 v4, s20
	s_sub_i32 s1, 0, s20
	v_rcp_iflag_f32_e32 v4, v4
	v_mul_f32_e32 v4, 0x4f7ffffe, v4
	v_cvt_u32_f32_e32 v4, v4
	v_mul_lo_u32 v7, s1, v4
	v_mul_hi_u32 v7, v4, v7
	v_add_nc_u32_e32 v4, v4, v7
	v_mul_hi_u32 v4, v5, v4
	v_mul_lo_u32 v7, v4, s20
	v_add_nc_u32_e32 v8, 1, v4
	v_sub_nc_u32_e32 v7, v5, v7
	v_subrev_nc_u32_e32 v9, s20, v7
	v_cmp_le_u32_e32 vcc_lo, s20, v7
	v_cndmask_b32_e32 v7, v7, v9, vcc_lo
	v_cndmask_b32_e32 v4, v4, v8, vcc_lo
	v_cmp_le_u32_e32 vcc_lo, s20, v7
	v_add_nc_u32_e32 v8, 1, v4
	v_cndmask_b32_e32 v7, v4, v8, vcc_lo
	v_mov_b32_e32 v8, v3
.LBB0_6:                                ;   in Loop: Header=BB0_2 Depth=1
	s_or_b32 exec_lo, exec_lo, s0
	s_load_dwordx2 s[0:1], s[6:7], 0x0
	v_mul_lo_u32 v4, v8, s20
	v_mul_lo_u32 v11, v7, s21
	v_mad_u64_u32 v[9:10], null, v7, s20, 0
	s_add_u32 s18, s18, 1
	s_addc_u32 s19, s19, 0
	s_add_u32 s6, s6, 8
	s_addc_u32 s7, s7, 0
	;; [unrolled: 2-line block ×3, first 2 shown]
	v_add3_u32 v4, v10, v11, v4
	v_sub_co_u32 v5, vcc_lo, v5, v9
	v_sub_co_ci_u32_e32 v4, vcc_lo, v6, v4, vcc_lo
	s_waitcnt lgkmcnt(0)
	v_mul_lo_u32 v6, s1, v5
	v_mul_lo_u32 v4, s0, v4
	v_mad_u64_u32 v[1:2], null, s0, v5, v[1:2]
	v_cmp_ge_u64_e64 s0, s[18:19], s[10:11]
	s_and_b32 vcc_lo, exec_lo, s0
	v_add3_u32 v2, v6, v2, v4
	s_cbranch_vccnz .LBB0_9
; %bb.7:                                ;   in Loop: Header=BB0_2 Depth=1
	v_mov_b32_e32 v5, v7
	v_mov_b32_e32 v6, v8
	s_branch .LBB0_2
.LBB0_8:
	v_mov_b32_e32 v8, v6
	v_mov_b32_e32 v7, v5
.LBB0_9:
	s_lshl_b64 s[0:1], s[10:11], 3
	v_mul_hi_u32 v3, 0x1e573ad, v0
	s_add_u32 s0, s14, s0
	s_addc_u32 s1, s15, s1
	s_load_dwordx2 s[4:5], s[4:5], 0x20
	s_load_dwordx2 s[0:1], s[0:1], 0x0
                                        ; implicit-def: $vgpr85
                                        ; implicit-def: $vgpr84
                                        ; implicit-def: $vgpr89
                                        ; implicit-def: $vgpr86
                                        ; implicit-def: $vgpr87
                                        ; implicit-def: $vgpr88
                                        ; implicit-def: $vgpr90
                                        ; implicit-def: $vgpr91
                                        ; implicit-def: $vgpr92
	v_mul_u32_u24_e32 v3, 0x87, v3
	v_sub_nc_u32_e32 v80, v0, v3
	v_add_nc_u32_e32 v79, 0x87, v80
	v_add_nc_u32_e32 v75, 0x10e, v80
	;; [unrolled: 1-line block ×5, first 2 shown]
	s_waitcnt lgkmcnt(0)
	v_cmp_gt_u64_e32 vcc_lo, s[4:5], v[7:8]
	v_mul_lo_u32 v3, s0, v8
	v_mul_lo_u32 v4, s1, v7
	v_mad_u64_u32 v[0:1], null, s0, v7, v[1:2]
	v_cmp_le_u64_e64 s0, s[4:5], v[7:8]
	v_add_nc_u32_e32 v66, 0x2a3, v80
	v_add_nc_u32_e32 v64, 0x3b1, v80
	;; [unrolled: 1-line block ×4, first 2 shown]
	v_add3_u32 v1, v4, v1, v3
	s_and_saveexec_b32 s1, s0
	s_xor_b32 s0, exec_lo, s1
; %bb.10:
	v_add_nc_u32_e32 v85, 0x87, v80
	v_add_nc_u32_e32 v84, 0x10e, v80
	;; [unrolled: 1-line block ×9, first 2 shown]
; %bb.11:
	s_or_saveexec_b32 s1, s0
	v_lshlrev_b64 v[20:21], 3, v[0:1]
	v_add_nc_u32_e32 v77, 0x654, v80
	v_add_nc_u32_e32 v68, 0x7e9, v80
	;; [unrolled: 1-line block ×12, first 2 shown]
                                        ; implicit-def: $vgpr7
                                        ; implicit-def: $vgpr5
                                        ; implicit-def: $vgpr15
                                        ; implicit-def: $vgpr9
                                        ; implicit-def: $vgpr19
                                        ; implicit-def: $vgpr13
                                        ; implicit-def: $vgpr41
                                        ; implicit-def: $vgpr11
                                        ; implicit-def: $vgpr3
                                        ; implicit-def: $vgpr1
                                        ; implicit-def: $vgpr25
                                        ; implicit-def: $vgpr27
                                        ; implicit-def: $vgpr35
                                        ; implicit-def: $vgpr29
                                        ; implicit-def: $vgpr39
                                        ; implicit-def: $vgpr33
                                        ; implicit-def: $vgpr43
                                        ; implicit-def: $vgpr31
                                        ; implicit-def: $vgpr23
                                        ; implicit-def: $vgpr17
                                        ; implicit-def: $vgpr45
                                        ; implicit-def: $vgpr57
                                        ; implicit-def: $vgpr47
                                        ; implicit-def: $vgpr55
                                        ; implicit-def: $vgpr51
                                        ; implicit-def: $vgpr61
                                        ; implicit-def: $vgpr53
                                        ; implicit-def: $vgpr59
                                        ; implicit-def: $vgpr49
                                        ; implicit-def: $vgpr37
	s_xor_b32 exec_lo, exec_lo, s1
	s_cbranch_execz .LBB0_13
; %bb.12:
	v_mad_u64_u32 v[0:1], null, s2, v80, 0
	v_mad_u64_u32 v[2:3], null, s2, v72, 0
	;; [unrolled: 1-line block ×4, first 2 shown]
	v_add_nc_u32_e32 v22, 0x97e, v80
	v_mad_u64_u32 v[18:19], null, s2, v78, 0
	v_mad_u64_u32 v[8:9], null, s3, v80, v[1:2]
	;; [unrolled: 1-line block ×4, first 2 shown]
	v_add_co_u32 v4, s0, s12, v20
	v_mov_b32_e32 v1, v8
	v_add_co_ci_u32_e64 v5, s0, s13, v21, s0
	v_mov_b32_e32 v8, v10
	v_lshlrev_b64 v[2:3], 3, v[2:3]
	v_lshlrev_b64 v[0:1], 3, v[0:1]
	v_add_nc_u32_e32 v31, 0xe3d, v80
	v_mad_u64_u32 v[27:28], null, s2, v79, 0
	v_mad_u64_u32 v[13:14], null, s3, v65, v[7:8]
	;; [unrolled: 1-line block ×3, first 2 shown]
	v_mov_b32_e32 v8, v12
	v_add_co_u32 v0, s0, v4, v0
	v_add_co_ci_u32_e64 v1, s0, v5, v1, s0
	v_mov_b32_e32 v7, v13
	v_mov_b32_e32 v10, v14
	v_mad_u64_u32 v[13:14], null, s2, v68, 0
	v_mad_u64_u32 v[15:16], null, s3, v77, v[8:9]
	;; [unrolled: 1-line block ×3, first 2 shown]
	v_lshlrev_b64 v[6:7], 3, v[6:7]
	v_lshlrev_b64 v[8:9], 3, v[9:10]
	v_mov_b32_e32 v10, v14
	v_add_co_u32 v2, s0, v4, v2
	v_mov_b32_e32 v12, v15
	v_add_co_ci_u32_e64 v3, s0, v5, v3, s0
	v_mad_u64_u32 v[14:15], null, s3, v68, v[10:11]
	v_lshlrev_b64 v[11:12], 3, v[11:12]
	v_add_co_u32 v6, s0, v4, v6
	v_mov_b32_e32 v10, v17
	v_add_co_ci_u32_e64 v7, s0, v5, v7, s0
	v_add_co_u32 v8, s0, v4, v8
	v_add_co_ci_u32_e64 v9, s0, v5, v9, s0
	v_mad_u64_u32 v[22:23], null, s3, v22, v[10:11]
	v_add_co_u32 v10, s0, v4, v11
	v_lshlrev_b64 v[13:14], 3, v[13:14]
	v_add_co_ci_u32_e64 v11, s0, v5, v12, s0
	v_mov_b32_e32 v12, v19
	v_mov_b32_e32 v17, v22
	v_mad_u64_u32 v[25:26], null, s2, v31, 0
	v_mad_u64_u32 v[35:36], null, s2, v74, 0
	;; [unrolled: 1-line block ×4, first 2 shown]
	v_add_co_u32 v12, s0, v4, v13
	v_add_co_ci_u32_e64 v13, s0, v5, v14, s0
	v_lshlrev_b64 v[14:15], 3, v[16:17]
	v_mov_b32_e32 v17, v26
	v_mov_b32_e32 v16, v24
	;; [unrolled: 1-line block ×3, first 2 shown]
	v_add_nc_u32_e32 v42, 0x870, v80
	v_add_nc_u32_e32 v43, 0xa05, v80
	v_add_co_u32 v14, s0, v4, v14
	v_mad_u64_u32 v[29:30], null, s3, v70, v[16:17]
	v_mad_u64_u32 v[16:17], null, s3, v31, v[17:18]
	v_lshlrev_b64 v[18:19], 3, v[18:19]
	v_mov_b32_e32 v17, v28
	v_mad_u64_u32 v[31:32], null, s2, v64, 0
	v_mov_b32_e32 v24, v29
	v_mad_u64_u32 v[29:30], null, s2, v69, 0
	v_mov_b32_e32 v26, v16
	v_add_co_ci_u32_e64 v15, s0, v5, v15, s0
	v_mad_u64_u32 v[16:17], null, s3, v79, v[17:18]
	v_add_co_u32 v17, s0, v4, v18
	v_add_co_ci_u32_e64 v18, s0, v5, v19, s0
	v_mov_b32_e32 v19, v30
	v_lshlrev_b64 v[22:23], 3, v[23:24]
	v_lshlrev_b64 v[24:25], 3, v[25:26]
	v_mov_b32_e32 v26, v32
	v_mov_b32_e32 v28, v16
	v_mad_u64_u32 v[32:33], null, s3, v69, v[19:20]
	v_mad_u64_u32 v[37:38], null, s2, v42, 0
	;; [unrolled: 1-line block ×3, first 2 shown]
	v_mov_b32_e32 v19, v36
	v_add_co_u32 v22, s0, v4, v22
	v_mov_b32_e32 v30, v32
	v_lshlrev_b64 v[26:27], 3, v[27:28]
	v_add_co_ci_u32_e64 v23, s0, v5, v23, s0
	v_mov_b32_e32 v32, v33
	v_mad_u64_u32 v[33:34], null, s2, v82, 0
	v_add_co_u32 v24, s0, v4, v24
	v_lshlrev_b64 v[28:29], 3, v[29:30]
	v_add_co_ci_u32_e64 v25, s0, v5, v25, s0
	v_add_co_u32 v26, s0, v4, v26
	v_mov_b32_e32 v16, v34
	v_lshlrev_b64 v[30:31], 3, v[31:32]
	v_add_nc_u32_e32 v48, 0xec4, v80
	v_add_co_ci_u32_e64 v27, s0, v5, v27, s0
	v_mad_u64_u32 v[39:40], null, s3, v82, v[16:17]
	v_mad_u64_u32 v[40:41], null, s3, v74, v[19:20]
	v_mov_b32_e32 v16, v38
	v_add_co_u32 v28, s0, v4, v28
	v_add_co_ci_u32_e64 v29, s0, v5, v29, s0
	v_mov_b32_e32 v34, v39
	v_mad_u64_u32 v[38:39], null, s3, v42, v[16:17]
	v_mov_b32_e32 v36, v40
	v_mad_u64_u32 v[39:40], null, s2, v43, 0
	v_mad_u64_u32 v[41:42], null, s2, v76, 0
	v_lshlrev_b64 v[32:33], 3, v[33:34]
	v_add_co_u32 v30, s0, v4, v30
	v_lshlrev_b64 v[34:35], 3, v[35:36]
	v_mov_b32_e32 v16, v40
	v_mad_u64_u32 v[46:47], null, s2, v48, 0
	v_mov_b32_e32 v19, v42
	v_add_co_ci_u32_e64 v31, s0, v5, v31, s0
	v_mad_u64_u32 v[42:43], null, s3, v43, v[16:17]
	v_mad_u64_u32 v[43:44], null, s3, v76, v[19:20]
	;; [unrolled: 1-line block ×3, first 2 shown]
	v_add_co_u32 v32, s0, v4, v32
	v_lshlrev_b64 v[36:37], 3, v[37:38]
	v_add_co_ci_u32_e64 v33, s0, v5, v33, s0
	v_add_co_u32 v34, s0, v4, v34
	v_mov_b32_e32 v40, v42
	v_mov_b32_e32 v42, v43
	;; [unrolled: 1-line block ×3, first 2 shown]
	v_add_co_ci_u32_e64 v35, s0, v5, v35, s0
	v_mov_b32_e32 v19, v47
	v_add_co_u32 v84, s0, v4, v36
	v_add_co_ci_u32_e64 v85, s0, v5, v37, s0
	v_lshlrev_b64 v[36:37], 3, v[39:40]
	v_lshlrev_b64 v[38:39], 3, v[41:42]
	v_mad_u64_u32 v[40:41], null, s3, v67, v[16:17]
	v_mad_u64_u32 v[41:42], null, s3, v48, v[19:20]
	;; [unrolled: 1-line block ×3, first 2 shown]
	v_add_co_u32 v86, s0, v4, v36
	v_mov_b32_e32 v45, v40
	v_add_co_ci_u32_e64 v87, s0, v5, v37, s0
	v_add_co_u32 v88, s0, v4, v38
	v_mov_b32_e32 v16, v43
	v_add_co_ci_u32_e64 v89, s0, v5, v39, s0
	v_lshlrev_b64 v[36:37], 3, v[44:45]
	v_mad_u64_u32 v[38:39], null, s2, v66, 0
	v_mov_b32_e32 v47, v41
	v_mad_u64_u32 v[40:41], null, s3, v75, v[16:17]
	v_add_co_u32 v90, s0, v4, v36
	v_add_co_ci_u32_e64 v91, s0, v5, v37, s0
	v_lshlrev_b64 v[36:37], 3, v[46:47]
	v_mov_b32_e32 v16, v39
	v_mad_u64_u32 v[44:45], null, s2, v63, 0
	v_mov_b32_e32 v43, v40
	v_add_nc_u32_e32 v19, 0x8f7, v80
	v_mad_u64_u32 v[39:40], null, s3, v66, v[16:17]
	v_add_co_u32 v40, s0, v4, v36
	v_add_co_ci_u32_e64 v41, s0, v5, v37, s0
	v_lshlrev_b64 v[36:37], 3, v[42:43]
	v_mov_b32_e32 v16, v45
	v_mad_u64_u32 v[42:43], null, s2, v81, 0
	v_add_nc_u32_e32 v52, 0xdb6, v80
	v_add_nc_u32_e32 v53, 0xf4b, v80
	v_add_co_u32 v92, s0, v4, v36
	v_mad_u64_u32 v[45:46], null, s3, v63, v[16:17]
	v_add_co_ci_u32_e64 v93, s0, v5, v37, s0
	v_lshlrev_b64 v[36:37], 3, v[38:39]
	v_mad_u64_u32 v[38:39], null, s2, v71, 0
	v_mov_b32_e32 v16, v43
	v_mad_u64_u32 v[50:51], null, s2, v53, 0
	v_add_co_u32 v94, s0, v4, v36
	v_add_co_ci_u32_e64 v95, s0, v5, v37, s0
	v_lshlrev_b64 v[36:37], 3, v[44:45]
	v_mad_u64_u32 v[44:45], null, s2, v19, 0
	v_mad_u64_u32 v[46:47], null, s3, v81, v[16:17]
	v_mov_b32_e32 v16, v39
	v_add_co_u32 v96, s0, v4, v36
	v_add_co_ci_u32_e64 v97, s0, v5, v37, s0
	v_mad_u64_u32 v[47:48], null, s3, v71, v[16:17]
	v_mov_b32_e32 v16, v45
	v_mov_b32_e32 v43, v46
	v_mad_u64_u32 v[45:46], null, s3, v19, v[16:17]
	v_mov_b32_e32 v39, v47
	v_mad_u64_u32 v[46:47], null, s2, v73, 0
	v_lshlrev_b64 v[36:37], 3, v[42:43]
	v_mad_u64_u32 v[42:43], null, s2, v83, 0
	v_mov_b32_e32 v19, v47
	v_add_co_u32 v98, s0, v4, v36
	v_mov_b32_e32 v16, v43
	v_add_co_ci_u32_e64 v99, s0, v5, v37, s0
	v_mad_u64_u32 v[47:48], null, s3, v73, v[19:20]
	v_lshlrev_b64 v[36:37], 3, v[38:39]
	v_mad_u64_u32 v[38:39], null, s3, v83, v[16:17]
	v_mad_u64_u32 v[48:49], null, s2, v52, 0
	v_mov_b32_e32 v19, v51
	v_add_co_u32 v100, s0, v4, v36
	v_add_co_ci_u32_e64 v101, s0, v5, v37, s0
	v_mov_b32_e32 v43, v38
	v_mov_b32_e32 v16, v49
	v_lshlrev_b64 v[36:37], 3, v[44:45]
	v_lshlrev_b64 v[38:39], 3, v[42:43]
	v_mad_u64_u32 v[42:43], null, s3, v52, v[16:17]
	v_mad_u64_u32 v[43:44], null, s3, v53, v[19:20]
	v_add_co_u32 v102, s0, v4, v36
	v_add_co_ci_u32_e64 v103, s0, v5, v37, s0
	v_lshlrev_b64 v[36:37], 3, v[46:47]
	v_mov_b32_e32 v49, v42
	v_add_co_u32 v104, s0, v4, v38
	v_mov_b32_e32 v51, v43
	v_add_co_ci_u32_e64 v105, s0, v5, v39, s0
	v_lshlrev_b64 v[38:39], 3, v[48:49]
	v_add_co_u32 v106, s0, v4, v36
	v_add_co_ci_u32_e64 v107, s0, v5, v37, s0
	v_lshlrev_b64 v[36:37], 3, v[50:51]
	v_add_co_u32 v108, s0, v4, v38
	v_add_co_ci_u32_e64 v109, s0, v5, v39, s0
	v_add_co_u32 v110, s0, v4, v36
	v_add_co_ci_u32_e64 v111, s0, v5, v37, s0
	s_clause 0x1d
	global_load_dwordx2 v[36:37], v[0:1], off
	global_load_dwordx2 v[48:49], v[2:3], off
	;; [unrolled: 1-line block ×30, first 2 shown]
	v_mov_b32_e32 v92, v62
	v_mov_b32_e32 v91, v63
	;; [unrolled: 1-line block ×9, first 2 shown]
.LBB0_13:
	s_or_b32 exec_lo, exec_lo, s1
	s_waitcnt vmcnt(23)
	v_add_f32_e32 v93, v54, v60
	s_waitcnt vmcnt(21)
	v_sub_f32_e32 v95, v59, v57
	v_sub_f32_e32 v96, v61, v55
	;; [unrolled: 1-line block ×4, first 2 shown]
	v_fma_f32 v93, -0.5, v93, v36
	v_add_f32_e32 v94, v58, v36
	v_add_f32_e32 v99, v56, v58
	v_sub_f32_e32 v101, v54, v56
	v_add_f32_e32 v97, v98, v97
	v_fmamk_f32 v100, v95, 0xbf737871, v93
	v_fmac_f32_e32 v93, 0x3f737871, v95
	v_add_f32_e32 v94, v60, v94
	v_fmac_f32_e32 v36, -0.5, v99
	v_add_f32_e32 v98, v59, v37
	v_fmac_f32_e32 v100, 0xbf167918, v96
	v_fmac_f32_e32 v93, 0x3f167918, v96
	v_add_f32_e32 v94, v54, v94
	v_fmamk_f32 v99, v96, 0x3f737871, v36
	v_fmac_f32_e32 v36, 0xbf737871, v96
	v_fmac_f32_e32 v100, 0x3e9e377a, v97
	;; [unrolled: 1-line block ×3, first 2 shown]
	v_sub_f32_e32 v97, v60, v58
	v_add_f32_e32 v96, v61, v98
	v_add_f32_e32 v98, v55, v61
	;; [unrolled: 1-line block ×3, first 2 shown]
	v_sub_f32_e32 v110, v60, v54
	v_add_f32_e32 v97, v101, v97
	v_add_f32_e32 v101, v57, v59
	v_fma_f32 v102, -0.5, v98, v37
	v_sub_f32_e32 v112, v58, v56
	v_sub_f32_e32 v54, v61, v59
	;; [unrolled: 1-line block ×3, first 2 shown]
	v_fmac_f32_e32 v37, -0.5, v101
	v_sub_f32_e32 v58, v59, v61
	v_add_f32_e32 v59, v52, v48
	v_fmac_f32_e32 v99, 0xbf167918, v95
	v_fmac_f32_e32 v36, 0x3f167918, v95
	v_add_f32_e32 v95, v55, v96
	v_fmamk_f32 v111, v110, 0xbf737871, v37
	v_sub_f32_e32 v55, v57, v55
	v_add_f32_e32 v54, v56, v54
	v_fmac_f32_e32 v37, 0x3f737871, v110
	v_add_f32_e32 v56, v50, v59
	v_add_f32_e32 v109, v57, v95
	v_fmac_f32_e32 v111, 0x3f167918, v112
	v_add_f32_e32 v57, v46, v50
	;; [unrolled: 3-line block ×3, first 2 shown]
	s_waitcnt vmcnt(20)
	v_add_f32_e32 v56, v44, v52
	v_fmac_f32_e32 v111, 0x3e9e377a, v54
	v_fma_f32 v114, -0.5, v57, v48
	v_sub_f32_e32 v57, v53, v45
	v_fmac_f32_e32 v37, 0x3e9e377a, v54
	v_add_f32_e32 v54, v44, v55
	v_sub_f32_e32 v55, v51, v47
	v_fmac_f32_e32 v48, -0.5, v56
	v_fmamk_f32 v56, v57, 0xbf737871, v114
	v_fmac_f32_e32 v114, 0x3f737871, v57
	v_sub_f32_e32 v58, v52, v50
	v_sub_f32_e32 v59, v44, v46
	v_fmamk_f32 v60, v55, 0x3f737871, v48
	v_fmac_f32_e32 v48, 0xbf737871, v55
	v_sub_f32_e32 v61, v50, v52
	v_sub_f32_e32 v95, v46, v44
	v_fmac_f32_e32 v56, 0xbf167918, v55
	v_fmac_f32_e32 v114, 0x3f167918, v55
	;; [unrolled: 1-line block ×3, first 2 shown]
	v_add_f32_e32 v55, v47, v51
	v_fmac_f32_e32 v48, 0x3f167918, v57
	v_add_f32_e32 v57, v45, v53
	v_add_f32_e32 v58, v59, v58
	;; [unrolled: 1-line block ×3, first 2 shown]
	v_fma_f32 v115, -0.5, v55, v49
	v_sub_f32_e32 v44, v52, v44
	v_add_f32_e32 v52, v53, v49
	v_sub_f32_e32 v46, v50, v46
	v_fmac_f32_e32 v49, -0.5, v57
	v_fmac_f32_e32 v56, 0x3e9e377a, v58
	v_fmac_f32_e32 v114, 0x3e9e377a, v58
	;; [unrolled: 1-line block ×4, first 2 shown]
	v_sub_f32_e32 v50, v53, v51
	v_fmamk_f32 v58, v46, 0xbf737871, v49
	v_sub_f32_e32 v53, v51, v53
	v_sub_f32_e32 v59, v47, v45
	v_fmamk_f32 v55, v44, 0x3f737871, v115
	v_sub_f32_e32 v57, v45, v47
	v_fmac_f32_e32 v49, 0x3f737871, v46
	v_fmac_f32_e32 v58, 0x3f167918, v44
	v_add_f32_e32 v53, v59, v53
	v_fmac_f32_e32 v115, 0xbf737871, v44
	v_fmac_f32_e32 v55, 0x3f167918, v46
	v_add_f32_e32 v50, v57, v50
	v_fmac_f32_e32 v49, 0xbf167918, v44
	v_add_f32_e32 v44, v51, v52
	v_fmac_f32_e32 v58, 0x3e9e377a, v53
	v_fmac_f32_e32 v115, 0xbf167918, v46
	;; [unrolled: 1-line block ×4, first 2 shown]
	v_add_f32_e32 v44, v47, v44
	v_mul_f32_e32 v53, 0xbf737871, v58
	v_fmac_f32_e32 v115, 0x3e9e377a, v50
	v_mul_f32_e32 v117, 0x3f167918, v56
	v_fmac_f32_e32 v99, 0x3e9e377a, v97
	v_mul_f32_e32 v52, 0xbf167918, v55
	v_mul_f32_e32 v57, 0xbf737871, v49
	v_add_f32_e32 v116, v45, v44
	v_fmac_f32_e32 v53, 0x3e9e377a, v60
	v_mul_f32_e32 v59, 0xbf167918, v115
	s_waitcnt vmcnt(13)
	v_add_f32_e32 v45, v28, v32
	v_fmac_f32_e32 v117, 0x3f4f1bbd, v55
	v_add_f32_e32 v55, v30, v16
	v_fmac_f32_e32 v36, 0x3e9e377a, v97
	v_fmac_f32_e32 v52, 0x3f4f1bbd, v56
	v_fmac_f32_e32 v57, 0xbe9e377a, v48
	v_add_f32_e32 v46, v54, v94
	v_add_f32_e32 v50, v99, v53
	v_fmac_f32_e32 v59, 0xbf4f1bbd, v114
	v_mul_f32_e32 v118, 0x3f737871, v60
	v_mul_f32_e32 v119, 0xbe9e377a, v49
	v_fma_f32 v60, -0.5, v45, v16
	s_waitcnt vmcnt(11)
	v_sub_f32_e32 v56, v31, v27
	v_sub_f32_e32 v45, v94, v54
	;; [unrolled: 1-line block ×3, first 2 shown]
	v_add_f32_e32 v53, v32, v55
	v_add_f32_e32 v94, v26, v30
	;; [unrolled: 1-line block ×5, first 2 shown]
	v_fmac_f32_e32 v118, 0x3e9e377a, v58
	v_fmac_f32_e32 v119, 0x3f737871, v48
	v_sub_f32_e32 v48, v100, v52
	v_fmamk_f32 v54, v56, 0xbf737871, v60
	v_sub_f32_e32 v55, v33, v29
	v_sub_f32_e32 v58, v30, v32
	;; [unrolled: 1-line block ×4, first 2 shown]
	v_add_f32_e32 v36, v28, v53
	v_fmac_f32_e32 v16, -0.5, v94
	v_sub_f32_e32 v53, v93, v59
	v_fmac_f32_e32 v60, 0x3f737871, v56
	v_add_f32_e32 v93, v42, v22
	v_fmac_f32_e32 v54, 0xbf167918, v55
	v_add_f32_e32 v57, v61, v58
	v_fmamk_f32 v58, v55, 0x3f737871, v16
	v_sub_f32_e32 v59, v32, v30
	v_sub_f32_e32 v61, v28, v26
	v_fmac_f32_e32 v60, 0x3f167918, v55
	v_add_f32_e32 v94, v34, v38
	v_fmac_f32_e32 v16, 0xbf737871, v55
	v_add_f32_e32 v55, v38, v93
	;; [unrolled: 2-line block ×3, first 2 shown]
	v_fma_f32 v120, -0.5, v94, v22
	v_fmac_f32_e32 v16, 0x3f167918, v56
	v_add_f32_e32 v55, v34, v55
	s_waitcnt vmcnt(10)
	v_add_f32_e32 v56, v24, v42
	v_sub_f32_e32 v93, v42, v38
	v_sub_f32_e32 v94, v24, v34
	v_fmac_f32_e32 v58, 0x3e9e377a, v59
	v_fmac_f32_e32 v16, 0x3e9e377a, v59
	v_fmac_f32_e32 v22, -0.5, v56
	v_add_f32_e32 v59, v24, v55
	v_add_f32_e32 v55, v94, v93
	v_sub_f32_e32 v56, v38, v42
	v_sub_f32_e32 v93, v34, v24
	v_add_f32_e32 v94, v35, v39
	v_sub_f32_e32 v24, v42, v24
	v_sub_f32_e32 v61, v43, v25
	v_add_f32_e32 v126, v43, v23
	v_add_f32_e32 v56, v93, v56
	;; [unrolled: 1-line block ×3, first 2 shown]
	v_fma_f32 v123, -0.5, v94, v23
	v_sub_f32_e32 v42, v43, v39
	v_sub_f32_e32 v94, v25, v35
	;; [unrolled: 1-line block ×3, first 2 shown]
	v_fmac_f32_e32 v23, -0.5, v93
	v_fmamk_f32 v124, v24, 0x3f737871, v123
	v_fmac_f32_e32 v54, 0x3e9e377a, v57
	v_fmac_f32_e32 v60, 0x3e9e377a, v57
	v_fmamk_f32 v121, v61, 0xbf737871, v120
	v_sub_f32_e32 v57, v39, v35
	v_add_f32_e32 v38, v94, v42
	v_fmamk_f32 v125, v34, 0xbf737871, v23
	v_sub_f32_e32 v42, v39, v43
	v_sub_f32_e32 v43, v35, v25
	v_fmac_f32_e32 v124, 0x3f167918, v34
	v_fmac_f32_e32 v121, 0xbf167918, v57
	v_fmamk_f32 v122, v57, 0x3f737871, v22
	v_fmac_f32_e32 v23, 0x3f737871, v34
	v_fmac_f32_e32 v125, 0x3f167918, v24
	v_add_f32_e32 v42, v43, v42
	v_fmac_f32_e32 v124, 0x3e9e377a, v38
	v_fmac_f32_e32 v123, 0xbf737871, v24
	;; [unrolled: 1-line block ×7, first 2 shown]
	v_mul_f32_e32 v24, 0xbf167918, v124
	v_fmac_f32_e32 v123, 0xbf167918, v34
	v_fmac_f32_e32 v120, 0x3f167918, v57
	;; [unrolled: 1-line block ×4, first 2 shown]
	v_mul_f32_e32 v34, 0xbf737871, v125
	v_fmac_f32_e32 v24, 0x3f4f1bbd, v121
	v_fmac_f32_e32 v123, 0x3e9e377a, v38
	v_fmac_f32_e32 v120, 0x3e9e377a, v55
	v_fmac_f32_e32 v22, 0x3f167918, v61
	v_fmac_f32_e32 v23, 0x3e9e377a, v42
	v_fmac_f32_e32 v34, 0x3e9e377a, v122
	v_add_f32_e32 v43, v54, v24
	v_mul_f32_e32 v38, 0xbf167918, v123
	v_sub_f32_e32 v54, v54, v24
	v_mul_u32_u24_e32 v24, 10, v80
	v_add_f32_e32 v36, v26, v36
	v_fmac_f32_e32 v22, 0x3e9e377a, v56
	v_mul_f32_e32 v93, 0xbf737871, v23
	v_sub_f32_e32 v55, v58, v34
	v_add_f32_e32 v56, v58, v34
	v_fmac_f32_e32 v38, 0xbf4f1bbd, v120
	s_waitcnt vmcnt(3)
	v_add_f32_e32 v34, v8, v12
	v_lshl_add_u32 v128, v24, 2, 0
	v_add_f32_e32 v42, v59, v36
	v_fmac_f32_e32 v93, 0xbe9e377a, v22
	v_sub_f32_e32 v59, v36, v59
	v_add_f32_e32 v58, v60, v38
	v_sub_f32_e32 v61, v60, v38
	v_fma_f32 v24, -0.5, v34, v0
	ds_write2_b64 v128, v[46:47], v[50:51] offset1:1
	v_sub_f32_e32 v34, v10, v12
	s_waitcnt vmcnt(1)
	v_sub_f32_e32 v36, v4, v8
	v_add_f32_e32 v38, v4, v10
	v_sub_f32_e32 v46, v11, v5
	v_add_f32_e32 v57, v16, v93
	;; [unrolled: 2-line block ×3, first 2 shown]
	v_add_f32_e32 v34, v36, v34
	v_fmac_f32_e32 v0, -0.5, v38
	v_sub_f32_e32 v36, v13, v9
	v_fmamk_f32 v38, v46, 0xbf737871, v24
	v_fmac_f32_e32 v24, 0x3f737871, v46
	v_sub_f32_e32 v47, v12, v10
	v_sub_f32_e32 v50, v8, v4
	v_fmamk_f32 v51, v36, 0x3f737871, v0
	v_fmac_f32_e32 v38, 0xbf167918, v36
	v_fmac_f32_e32 v24, 0x3f167918, v36
	;; [unrolled: 1-line block ×3, first 2 shown]
	v_add_f32_e32 v36, v50, v47
	v_add_f32_e32 v47, v14, v18
	v_fmac_f32_e32 v51, 0xbf167918, v46
	v_fmac_f32_e32 v38, 0x3e9e377a, v34
	;; [unrolled: 1-line block ×4, first 2 shown]
	v_fma_f32 v141, -0.5, v47, v2
	ds_write2_b64 v128, v[44:45], v[48:49] offset0:2 offset1:3
	v_sub_f32_e32 v34, v40, v18
	s_waitcnt vmcnt(0)
	v_sub_f32_e32 v44, v6, v14
	v_sub_f32_e32 v45, v41, v7
	v_add_f32_e32 v46, v6, v40
	v_fmac_f32_e32 v51, 0x3e9e377a, v36
	v_fmac_f32_e32 v0, 0x3e9e377a, v36
	v_add_f32_e32 v36, v40, v2
	v_add_f32_e32 v44, v44, v34
	v_fmamk_f32 v142, v45, 0xbf737871, v141
	v_fmac_f32_e32 v2, -0.5, v46
	v_sub_f32_e32 v34, v19, v15
	v_fmac_f32_e32 v141, 0x3f737871, v45
	v_mul_i32_i24_e32 v48, 10, v85
	v_sub_f32_e32 v46, v18, v40
	v_sub_f32_e32 v47, v14, v6
	v_fmac_f32_e32 v142, 0xbf167918, v34
	v_fmac_f32_e32 v141, 0x3f167918, v34
	v_fmamk_f32 v143, v34, 0x3f737871, v2
	v_fmac_f32_e32 v2, 0xbf737871, v34
	v_lshl_add_u32 v34, v48, 2, 0
	ds_write_b64 v128, v[52:53] offset:32
	v_add_f32_e32 v46, v47, v46
	v_add_f32_e32 v47, v15, v19
	v_fmac_f32_e32 v143, 0xbf167918, v45
	ds_write2_b64 v34, v[42:43], v[56:57] offset1:1
	v_add_f32_e32 v42, v7, v41
	v_fmac_f32_e32 v2, 0x3f167918, v45
	v_fma_f32 v144, -0.5, v47, v3
	v_sub_f32_e32 v45, v18, v14
	v_add_f32_e32 v146, v41, v3
	v_fmac_f32_e32 v3, -0.5, v42
	v_sub_f32_e32 v48, v41, v19
	v_sub_f32_e32 v40, v40, v6
	;; [unrolled: 1-line block ×4, first 2 shown]
	v_fmamk_f32 v148, v45, 0xbf737871, v3
	v_fmac_f32_e32 v3, 0x3f737871, v45
	v_sub_f32_e32 v49, v7, v15
	v_fmamk_f32 v145, v40, 0x3f737871, v144
	v_fmac_f32_e32 v144, 0xbf737871, v40
	v_add_f32_e32 v41, v42, v41
	v_fmac_f32_e32 v3, 0xbf167918, v40
	v_add_f32_e32 v43, v49, v48
	v_add_f32_e32 v16, v12, v16
	v_fmac_f32_e32 v144, 0xbf167918, v45
	v_add_f32_e32 v18, v18, v36
	v_fmac_f32_e32 v148, 0x3f167918, v40
	v_fmac_f32_e32 v3, 0x3e9e377a, v41
	v_add_f32_e32 v16, v8, v16
	v_fmac_f32_e32 v2, 0x3e9e377a, v46
	v_add_f32_e32 v14, v14, v18
	v_fmac_f32_e32 v148, 0x3e9e377a, v41
	v_fmac_f32_e32 v144, 0x3e9e377a, v43
	v_mul_f32_e32 v48, 0xbf737871, v3
	v_fmac_f32_e32 v145, 0x3f167918, v45
	v_fmamk_f32 v147, v112, 0x3f737871, v102
	v_add_f32_e32 v16, v4, v16
	v_fmac_f32_e32 v143, 0x3e9e377a, v46
	v_mul_f32_e32 v36, 0xbf737871, v148
	v_add_f32_e32 v6, v6, v14
	v_fmac_f32_e32 v141, 0x3e9e377a, v44
	v_fmac_f32_e32 v48, 0xbe9e377a, v2
	v_mul_f32_e32 v14, 0xbf167918, v144
	v_fmac_f32_e32 v102, 0xbf737871, v112
	v_fmac_f32_e32 v145, 0x3e9e377a, v43
	v_fmac_f32_e32 v36, 0x3e9e377a, v143
	v_add_f32_e32 v40, v6, v16
	v_add_f32_e32 v43, v0, v48
	v_fmac_f32_e32 v14, 0xbf4f1bbd, v141
	v_sub_f32_e32 v45, v16, v6
	v_mul_i32_i24_e32 v6, 10, v84
	v_sub_f32_e32 v48, v0, v48
	v_fmac_f32_e32 v102, 0xbf167918, v110
	v_mul_f32_e32 v0, 0xbf4f1bbd, v115
	v_fmac_f32_e32 v147, 0x3f167918, v110
	v_fmac_f32_e32 v142, 0x3e9e377a, v44
	v_add_f32_e32 v42, v51, v36
	v_sub_f32_e32 v47, v51, v36
	v_add_f32_e32 v44, v24, v14
	v_sub_f32_e32 v49, v24, v14
	v_lshl_add_u32 v36, v6, 2, 0
	v_fmac_f32_e32 v102, 0x3e9e377a, v113
	v_fmac_f32_e32 v0, 0x3f167918, v114
	v_add_f32_e32 v6, v39, v126
	v_add_f32_e32 v14, v31, v17
	v_fmac_f32_e32 v147, 0x3e9e377a, v113
	v_mul_f32_e32 v18, 0xbf167918, v145
	v_add_f32_e32 v114, v102, v0
	v_sub_f32_e32 v113, v102, v0
	v_add_f32_e32 v0, v35, v6
	v_add_f32_e32 v6, v33, v14
	;; [unrolled: 1-line block ×3, first 2 shown]
	v_sub_f32_e32 v26, v30, v26
	v_add_f32_e32 v30, v27, v31
	v_fmac_f32_e32 v18, 0x3f4f1bbd, v142
	v_sub_f32_e32 v16, v32, v28
	v_add_f32_e32 v6, v29, v6
	v_fma_f32 v14, -0.5, v14, v17
	v_fmac_f32_e32 v17, -0.5, v30
	v_add_f32_e32 v41, v38, v18
	v_sub_f32_e32 v46, v38, v18
	v_sub_f32_e32 v18, v31, v33
	;; [unrolled: 1-line block ×5, first 2 shown]
	v_add_f32_e32 v6, v27, v6
	v_add_f32_e32 v0, v25, v0
	v_fmamk_f32 v27, v26, 0x3f737871, v14
	v_fmac_f32_e32 v14, 0xbf737871, v26
	v_fmamk_f32 v25, v16, 0xbf737871, v17
	v_fmac_f32_e32 v17, 0x3f737871, v16
	v_mul_f32_e32 v23, 0xbe9e377a, v23
	v_add_f32_e32 v18, v31, v18
	v_fmac_f32_e32 v27, 0x3f167918, v16
	v_fmac_f32_e32 v14, 0xbf167918, v16
	v_add_f32_e32 v16, v29, v28
	v_fmac_f32_e32 v25, 0x3f167918, v26
	v_fmac_f32_e32 v17, 0xbf167918, v26
	v_mul_f32_e32 v26, 0x3f737871, v122
	v_mul_f32_e32 v28, 0x3f167918, v121
	;; [unrolled: 1-line block ×3, first 2 shown]
	v_fmac_f32_e32 v23, 0x3f737871, v22
	v_fmac_f32_e32 v27, 0x3e9e377a, v18
	;; [unrolled: 1-line block ×8, first 2 shown]
	v_add_f32_e32 v16, v11, v1
	v_add_f32_e32 v18, v17, v23
	v_sub_f32_e32 v22, v17, v23
	v_add_f32_e32 v17, v25, v26
	v_sub_f32_e32 v26, v25, v26
	v_sub_f32_e32 v25, v27, v28
	v_add_f32_e32 v28, v27, v28
	v_add_f32_e32 v27, v0, v6
	v_sub_f32_e32 v30, v6, v0
	v_add_f32_e32 v29, v14, v31
	v_sub_f32_e32 v23, v14, v31
	v_add_f32_e32 v6, v13, v16
	v_add_f32_e32 v14, v9, v13
	;; [unrolled: 1-line block ×3, first 2 shown]
	v_sub_f32_e32 v4, v10, v4
	v_add_f32_e32 v10, v5, v11
	v_add_f32_e32 v6, v9, v6
	v_fma_f32 v14, -0.5, v14, v1
	v_add_f32_e32 v0, v15, v19
	v_sub_f32_e32 v8, v12, v8
	v_sub_f32_e32 v12, v11, v13
	;; [unrolled: 1-line block ×5, first 2 shown]
	v_add_f32_e32 v15, v5, v6
	v_fmac_f32_e32 v1, -0.5, v10
	v_fmamk_f32 v5, v4, 0x3f737871, v14
	v_fmac_f32_e32 v14, 0xbf737871, v4
	v_add_f32_e32 v0, v7, v0
	v_add_f32_e32 v6, v11, v12
	v_fmamk_f32 v7, v8, 0xbf737871, v1
	v_fmac_f32_e32 v1, 0x3f737871, v8
	v_fmac_f32_e32 v5, 0x3f167918, v8
	;; [unrolled: 1-line block ×3, first 2 shown]
	v_add_f32_e32 v8, v9, v13
	v_fmac_f32_e32 v7, 0x3f167918, v4
	v_fmac_f32_e32 v1, 0xbf167918, v4
	;; [unrolled: 1-line block ×4, first 2 shown]
	v_mul_f32_e32 v4, 0x3f167918, v142
	v_mul_f32_e32 v10, 0xbe9e377a, v3
	;; [unrolled: 1-line block ×3, first 2 shown]
	v_mov_b32_e32 v12, 0xcccd
	v_mad_i32_i24 v38, 0xffffffdc, v80, v128
	v_fmac_f32_e32 v7, 0x3e9e377a, v8
	v_fmac_f32_e32 v1, 0x3e9e377a, v8
	;; [unrolled: 1-line block ×4, first 2 shown]
	v_mul_f32_e32 v11, 0xbf4f1bbd, v144
	v_fmac_f32_e32 v6, 0x3e9e377a, v148
	v_mul_u32_u24_sdwa v13, v85, v12 dst_sel:DWORD dst_unused:UNUSED_PAD src0_sel:WORD_0 src1_sel:DWORD
	v_add_f32_e32 v137, v116, v109
	v_add_f32_e32 v138, v147, v117
	;; [unrolled: 1-line block ×4, first 2 shown]
	v_lshl_add_u32 v95, v87, 2, 0
	v_add_nc_u32_e32 v131, 0x3800, v38
	v_sub_f32_e32 v110, v147, v117
	v_sub_f32_e32 v111, v111, v118
	v_sub_f32_e32 v115, v109, v116
	v_add_f32_e32 v2, v0, v15
	v_add_f32_e32 v3, v5, v4
	v_fmac_f32_e32 v11, 0x3f167918, v141
	v_sub_f32_e32 v4, v5, v4
	v_sub_f32_e32 v5, v7, v6
	v_add_f32_e32 v6, v7, v6
	v_add_f32_e32 v7, v1, v10
	v_sub_f32_e32 v9, v15, v0
	v_sub_f32_e32 v0, v1, v10
	v_lshrrev_b32_e32 v31, 19, v13
	v_mul_u32_u24_sdwa v10, v84, v12 dst_sel:DWORD dst_unused:UNUSED_PAD src0_sel:WORD_0 src1_sel:DWORD
	v_mad_i32_i24 v97, 0xffffffdc, v84, v36
	v_sub_f32_e32 v112, v37, v119
	v_mad_i32_i24 v98, 0xffffffdc, v85, v34
	v_lshl_add_u32 v96, v88, 2, 0
	v_lshl_add_u32 v94, v86, 2, 0
	ds_write2_b64 v34, v[58:59], v[54:55] offset0:2 offset1:3
	ds_write_b64 v34, v[60:61] offset:32
	ds_write2_b64 v36, v[40:41], v[42:43] offset1:1
	ds_write2_b64 v36, v[44:45], v[46:47] offset0:2 offset1:3
	ds_write_b64 v36, v[48:49] offset:32
	s_waitcnt lgkmcnt(0)
	s_barrier
	buffer_gl0_inv
	ds_read_b32 v105, v38
	v_lshl_add_u32 v93, v89, 2, 0
	v_add_nc_u32_e32 v24, 0x1600, v38
	v_add_nc_u32_e32 v129, 0x2200, v38
	;; [unrolled: 1-line block ×10, first 2 shown]
	ds_read_b32 v99, v95
	ds_read_b32 v103, v97
	;; [unrolled: 1-line block ×6, first 2 shown]
	ds_read_b32 v107, v38 offset:15660
	ds_read2_b32 v[44:45], v24 offset0:77 offset1:212
	ds_read2_b32 v[42:43], v129 offset0:119 offset1:254
	;; [unrolled: 1-line block ×11, first 2 shown]
	s_waitcnt lgkmcnt(0)
	s_barrier
	buffer_gl0_inv
	ds_write2_b64 v128, v[137:138], v[139:140] offset1:1
	v_add_f32_e32 v8, v14, v11
	v_sub_f32_e32 v1, v14, v11
	ds_write2_b64 v128, v[114:115], v[110:111] offset0:2 offset1:3
	ds_write_b64 v128, v[112:113] offset:32
	ds_write2_b64 v34, v[27:28], v[17:18] offset1:1
	v_mul_lo_u16 v11, v31, 10
	v_lshrrev_b32_e32 v27, 19, v10
	v_mov_b32_e32 v10, 5
	ds_write2_b64 v34, v[29:30], v[25:26] offset0:2 offset1:3
	ds_write_b64 v34, v[22:23] offset:32
	ds_write2_b64 v36, v[2:3], v[6:7] offset1:1
	ds_write2_b64 v36, v[8:9], v[4:5] offset0:2 offset1:3
	ds_write_b64 v36, v[0:1] offset:32
	v_sub_nc_u16 v37, v85, v11
	v_mul_lo_u16 v11, v27, 10
	s_waitcnt lgkmcnt(0)
	s_barrier
	buffer_gl0_inv
	v_lshlrev_b32_sdwa v0, v10, v37 dst_sel:DWORD dst_unused:UNUSED_PAD src0_sel:DWORD src1_sel:WORD_0
	v_sub_nc_u16 v30, v84, v11
	v_mul_u32_u24_sdwa v2, v86, v12 dst_sel:DWORD dst_unused:UNUSED_PAD src0_sel:WORD_0 src1_sel:DWORD
	v_and_b32_e32 v102, 0xff, v80
	v_cmp_gt_u32_e64 s0, 15, v80
	s_clause 0x1
	global_load_dwordx4 v[110:113], v0, s[8:9]
	global_load_dwordx4 v[137:140], v0, s[8:9] offset:16
	v_lshlrev_b32_sdwa v1, v10, v30 dst_sel:DWORD dst_unused:UNUSED_PAD src0_sel:DWORD src1_sel:WORD_0
	v_lshrrev_b32_e32 v28, 19, v2
	v_mul_u32_u24_sdwa v0, v87, v12 dst_sel:DWORD dst_unused:UNUSED_PAD src0_sel:WORD_0 src1_sel:DWORD
	s_clause 0x1
	global_load_dwordx4 v[114:117], v1, s[8:9]
	global_load_dwordx4 v[141:144], v1, s[8:9] offset:16
	v_mul_lo_u16 v2, v28, 10
	v_lshrrev_b32_e32 v26, 19, v0
	v_sub_nc_u16 v35, v86, v2
	v_mul_lo_u16 v0, v26, 10
	v_mul_lo_u16 v2, 0xcd, v102
	v_lshlrev_b32_sdwa v1, v10, v35 dst_sel:DWORD dst_unused:UNUSED_PAD src0_sel:DWORD src1_sel:WORD_0
	v_sub_nc_u16 v29, v87, v0
	v_lshrrev_b16 v39, 11, v2
	s_clause 0x1
	global_load_dwordx4 v[145:148], v1, s[8:9]
	global_load_dwordx4 v[153:156], v1, s[8:9] offset:16
	v_lshlrev_b32_sdwa v0, v10, v29 dst_sel:DWORD dst_unused:UNUSED_PAD src0_sel:DWORD src1_sel:WORD_0
	v_mul_u32_u24_sdwa v1, v88, v12 dst_sel:DWORD dst_unused:UNUSED_PAD src0_sel:WORD_0 src1_sel:DWORD
	v_mul_lo_u16 v2, v39, 10
	s_clause 0x1
	global_load_dwordx4 v[149:152], v0, s[8:9]
	global_load_dwordx4 v[16:19], v0, s[8:9] offset:16
	v_lshrrev_b32_e32 v32, 19, v1
	v_sub_nc_u16 v128, v80, v2
	v_mul_lo_u16 v0, v32, 10
	v_lshlrev_b32_sdwa v1, v10, v128 dst_sel:DWORD dst_unused:UNUSED_PAD src0_sel:DWORD src1_sel:BYTE_0
	v_sub_nc_u16 v33, v88, v0
	global_load_dwordx4 v[12:15], v1, s[8:9]
	v_lshlrev_b32_sdwa v0, v10, v33 dst_sel:DWORD dst_unused:UNUSED_PAD src0_sel:DWORD src1_sel:WORD_0
	s_clause 0x2
	global_load_dwordx4 v[4:7], v0, s[8:9]
	global_load_dwordx4 v[8:11], v1, s[8:9] offset:16
	global_load_dwordx4 v[0:3], v0, s[8:9] offset:16
	ds_read2_b32 v[22:23], v134 offset0:49 offset1:184
	ds_read2_b32 v[118:119], v135 offset0:91 offset1:226
	;; [unrolled: 1-line block ×6, first 2 shown]
	s_waitcnt vmcnt(11)
	v_mul_f32_e32 v25, v60, v111
	s_waitcnt lgkmcnt(5)
	v_mul_f32_e32 v122, v22, v111
	v_mul_f32_e32 v109, v58, v113
	s_waitcnt lgkmcnt(4)
	v_mul_f32_e32 v123, v118, v113
	s_waitcnt vmcnt(10) lgkmcnt(3)
	v_mul_f32_e32 v126, v134, v138
	v_fma_f32 v120, v22, v110, -v25
	v_fmac_f32_e32 v122, v60, v110
	s_waitcnt vmcnt(9)
	v_mul_f32_e32 v22, v61, v115
	v_mul_f32_e32 v111, v23, v115
	v_fma_f32 v121, v118, v112, -v109
	s_waitcnt vmcnt(8)
	v_mul_f32_e32 v118, v135, v142
	v_fmac_f32_e32 v123, v58, v112
	v_fma_f32 v110, v23, v114, -v22
	v_mul_f32_e32 v23, v56, v138
	v_mul_f32_e32 v22, v59, v117
	;; [unrolled: 1-line block ×3, first 2 shown]
	s_waitcnt lgkmcnt(2)
	v_mul_f32_e32 v127, v157, v140
	v_mul_f32_e32 v25, v55, v144
	v_fma_f32 v124, v134, v137, -v23
	v_mul_f32_e32 v23, v57, v142
	v_fma_f32 v113, v119, v116, -v22
	v_mul_f32_e32 v22, v54, v140
	v_fmac_f32_e32 v112, v59, v116
	v_mul_f32_e32 v119, v158, v144
	v_fma_f32 v115, v135, v141, -v23
	ds_read2_b32 v[134:135], v130 offset0:19 offset1:154
	v_fma_f32 v125, v157, v139, -v22
	ds_read2_b32 v[22:23], v131 offset0:61 offset1:196
	v_fmac_f32_e32 v127, v54, v139
	s_waitcnt vmcnt(7) lgkmcnt(3)
	v_mul_f32_e32 v60, v159, v146
	v_mul_f32_e32 v54, v52, v146
	v_fma_f32 v116, v158, v143, -v25
	v_mul_f32_e32 v25, v50, v148
	v_fmac_f32_e32 v118, v57, v141
	v_fmac_f32_e32 v119, v55, v143
	s_waitcnt lgkmcnt(2)
	v_mul_f32_e32 v58, v132, v148
	v_fmac_f32_e32 v60, v52, v145
	v_fma_f32 v57, v159, v145, -v54
	s_waitcnt vmcnt(5)
	v_mul_f32_e32 v54, v160, v150
	v_mul_f32_e32 v52, v133, v152
	;; [unrolled: 1-line block ×3, first 2 shown]
	v_fma_f32 v59, v132, v147, -v25
	v_mul_f32_e32 v25, v46, v154
	v_fmac_f32_e32 v111, v61, v114
	v_fmac_f32_e32 v58, v50, v147
	v_mul_f32_e32 v50, v53, v150
	v_fmac_f32_e32 v54, v53, v149
	v_fmac_f32_e32 v52, v51, v151
	v_fma_f32 v51, v133, v151, -v55
	v_mul_f32_e32 v53, v48, v156
	ds_read_b32 v131, v93
	s_waitcnt lgkmcnt(2)
	v_fma_f32 v61, v134, v153, -v25
	ds_read2_b32 v[24:25], v24 offset0:77 offset1:212
	s_waitcnt vmcnt(4)
	v_mul_f32_e32 v55, v135, v17
	v_mul_f32_e32 v17, v47, v17
	v_fmac_f32_e32 v126, v56, v137
	v_mul_f32_e32 v114, v134, v154
	s_waitcnt lgkmcnt(2)
	v_mul_f32_e32 v117, v22, v156
	v_fma_f32 v109, v22, v155, -v53
	v_mul_f32_e32 v56, v23, v19
	v_fmac_f32_e32 v55, v47, v16
	v_fma_f32 v53, v135, v16, -v17
	ds_read2_b32 v[16:17], v129 offset0:119 offset1:254
	v_fmac_f32_e32 v114, v46, v153
	v_fmac_f32_e32 v117, v48, v155
	v_mul_f32_e32 v19, v49, v19
	v_fmac_f32_e32 v56, v49, v18
	ds_read_b32 v47, v94
	ds_read_b32 v46, v95
	;; [unrolled: 1-line block ×5, first 2 shown]
	ds_read_b32 v49, v38 offset:15660
	ds_read2_b32 v[135:136], v106 offset0:33 offset1:168
	ds_read_b32 v140, v38
	s_waitcnt vmcnt(3) lgkmcnt(10)
	v_mul_f32_e32 v137, v131, v13
	v_mul_f32_e32 v13, v108, v13
	s_waitcnt vmcnt(2) lgkmcnt(9)
	v_mul_f32_e32 v130, v24, v5
	v_mul_f32_e32 v5, v44, v5
	v_fma_f32 v132, v23, v18, -v19
	v_mul_f32_e32 v18, v25, v15
	v_fmac_f32_e32 v137, v108, v12
	v_fma_f32 v138, v131, v12, -v13
	v_fmac_f32_e32 v130, v44, v4
	v_fma_f32 v106, v24, v4, -v5
	s_waitcnt vmcnt(1)
	v_mul_f32_e32 v4, v43, v9
	v_fmac_f32_e32 v18, v45, v14
	s_waitcnt lgkmcnt(8)
	v_mul_f32_e32 v131, v16, v7
	v_mul_f32_e32 v7, v42, v7
	;; [unrolled: 1-line block ×4, first 2 shown]
	s_waitcnt vmcnt(0) lgkmcnt(0)
	v_fmac_f32_e32 v131, v42, v6
	v_fma_f32 v108, v16, v6, -v7
	v_fmac_f32_e32 v12, v43, v8
	v_fma_f32 v6, v17, v8, -v4
	v_mul_f32_e32 v4, v41, v11
	v_mul_f32_e32 v133, v135, v1
	v_mul_f32_e32 v1, v40, v1
	v_mul_f32_e32 v5, v136, v11
	v_fma_f32 v139, v25, v14, -v15
	v_fma_f32 v7, v136, v10, -v4
	v_fmac_f32_e32 v133, v40, v0
	v_fma_f32 v43, v135, v0, -v1
	v_add_f32_e32 v0, v18, v12
	v_fmac_f32_e32 v5, v41, v10
	v_add_f32_e32 v4, v105, v137
	v_sub_f32_e32 v8, v138, v7
	v_mul_f32_e32 v134, v49, v3
	v_fma_f32 v0, -0.5, v0, v105
	v_mul_f32_e32 v1, v107, v3
	v_sub_f32_e32 v3, v137, v18
	v_sub_f32_e32 v9, v5, v12
	v_mov_b32_e32 v10, 0xc8
	v_mov_b32_e32 v42, 2
	v_add_f32_e32 v4, v4, v18
	v_fmamk_f32 v11, v8, 0xbf737871, v0
	v_sub_f32_e32 v13, v139, v6
	v_add_f32_e32 v14, v137, v5
	v_add_f32_e32 v3, v3, v9
	v_mul_u32_u24_sdwa v9, v39, v10 dst_sel:DWORD dst_unused:UNUSED_PAD src0_sel:WORD_0 src1_sel:DWORD
	v_lshlrev_b32_sdwa v10, v42, v128 dst_sel:DWORD dst_unused:UNUSED_PAD src0_sel:DWORD src1_sel:BYTE_0
	v_add_f32_e32 v4, v4, v12
	v_fmac_f32_e32 v11, 0xbf167918, v13
	v_fmac_f32_e32 v105, -0.5, v14
	v_fmac_f32_e32 v134, v107, v2
	v_fma_f32 v107, v49, v2, -v1
	v_add3_u32 v128, 0, v9, v10
	v_add_f32_e32 v1, v4, v5
	v_fmac_f32_e32 v11, 0x3e9e377a, v3
	v_sub_f32_e32 v2, v18, v137
	v_sub_f32_e32 v4, v12, v5
	v_fmamk_f32 v9, v13, 0x3f737871, v105
	v_fmac_f32_e32 v105, 0xbf737871, v13
	s_barrier
	buffer_gl0_inv
	v_add_f32_e32 v2, v2, v4
	v_fmac_f32_e32 v9, 0xbf167918, v8
	v_fmac_f32_e32 v105, 0x3f167918, v8
	;; [unrolled: 1-line block ×3, first 2 shown]
	ds_write2_b32 v128, v1, v11 offset1:10
	v_add_f32_e32 v1, v123, v126
	v_fmac_f32_e32 v9, 0x3e9e377a, v2
	v_fmac_f32_e32 v105, 0x3e9e377a, v2
	;; [unrolled: 1-line block ×3, first 2 shown]
	v_sub_f32_e32 v2, v122, v123
	v_sub_f32_e32 v4, v127, v126
	v_add_f32_e32 v8, v104, v122
	v_fma_f32 v1, -0.5, v1, v104
	v_sub_f32_e32 v10, v120, v125
	v_fmac_f32_e32 v0, 0x3e9e377a, v3
	v_add_f32_e32 v2, v2, v4
	v_add_f32_e32 v3, v8, v123
	v_sub_f32_e32 v8, v121, v124
	v_fmamk_f32 v4, v10, 0xbf737871, v1
	v_add_f32_e32 v13, v122, v127
	ds_write2_b32 v128, v9, v105 offset0:20 offset1:30
	v_lshlrev_b32_sdwa v9, v42, v37 dst_sel:DWORD dst_unused:UNUSED_PAD src0_sel:DWORD src1_sel:WORD_0
	v_mul_u32_u24_e32 v11, 0xc8, v31
	v_add_f32_e32 v3, v3, v126
	v_fmac_f32_e32 v4, 0xbf167918, v8
	v_fmac_f32_e32 v104, -0.5, v13
	ds_write_b32 v128, v0 offset:160
	v_add3_u32 v105, 0, v11, v9
	v_add_f32_e32 v0, v3, v127
	v_fmac_f32_e32 v4, 0x3e9e377a, v2
	v_sub_f32_e32 v3, v123, v122
	v_sub_f32_e32 v9, v126, v127
	v_fmamk_f32 v11, v8, 0x3f737871, v104
	v_fmac_f32_e32 v104, 0xbf737871, v8
	ds_write2_b32 v105, v0, v4 offset1:10
	v_sub_f32_e32 v4, v7, v6
	v_add_f32_e32 v0, v3, v9
	v_fmac_f32_e32 v11, 0xbf167918, v10
	v_fmac_f32_e32 v104, 0x3f167918, v10
	v_sub_f32_e32 v3, v138, v139
	v_sub_f32_e32 v135, v137, v5
	v_fmac_f32_e32 v1, 0x3f737871, v10
	v_fmac_f32_e32 v11, 0x3e9e377a, v0
	;; [unrolled: 1-line block ×3, first 2 shown]
	v_add_f32_e32 v137, v3, v4
	v_add_f32_e32 v0, v112, v118
	v_sub_f32_e32 v3, v111, v112
	v_sub_f32_e32 v4, v119, v118
	v_add_f32_e32 v5, v111, v119
	v_fmac_f32_e32 v1, 0x3f167918, v8
	v_fma_f32 v0, -0.5, v0, v103
	v_sub_f32_e32 v8, v110, v116
	v_add_f32_e32 v3, v3, v4
	v_add_f32_e32 v4, v103, v111
	v_fmac_f32_e32 v103, -0.5, v5
	v_sub_f32_e32 v5, v113, v115
	v_sub_f32_e32 v136, v18, v12
	ds_write2_b32 v105, v11, v104 offset0:20 offset1:30
	v_fmamk_f32 v9, v8, 0xbf737871, v0
	v_fmac_f32_e32 v0, 0x3f737871, v8
	v_sub_f32_e32 v10, v112, v111
	v_sub_f32_e32 v11, v118, v119
	v_fmamk_f32 v12, v5, 0x3f737871, v103
	v_fmac_f32_e32 v103, 0xbf737871, v5
	v_fmac_f32_e32 v9, 0xbf167918, v5
	;; [unrolled: 1-line block ×3, first 2 shown]
	v_add_f32_e32 v5, v10, v11
	v_fmac_f32_e32 v12, 0xbf167918, v8
	v_fmac_f32_e32 v103, 0x3f167918, v8
	;; [unrolled: 1-line block ×3, first 2 shown]
	v_add_f32_e32 v2, v4, v112
	v_fmac_f32_e32 v9, 0x3e9e377a, v3
	v_fmac_f32_e32 v0, 0x3e9e377a, v3
	;; [unrolled: 1-line block ×4, first 2 shown]
	v_add_f32_e32 v3, v58, v114
	v_lshlrev_b32_sdwa v4, v42, v30 dst_sel:DWORD dst_unused:UNUSED_PAD src0_sel:DWORD src1_sel:WORD_0
	v_mul_u32_u24_e32 v5, 0xc8, v27
	v_add_f32_e32 v2, v2, v118
	ds_write_b32 v105, v1 offset:160
	v_fma_f32 v1, -0.5, v3, v101
	v_sub_f32_e32 v3, v57, v109
	v_add3_u32 v104, 0, v5, v4
	v_add_f32_e32 v2, v2, v119
	v_sub_f32_e32 v4, v60, v58
	v_sub_f32_e32 v5, v117, v114
	v_fmamk_f32 v8, v3, 0xbf737871, v1
	v_sub_f32_e32 v10, v59, v61
	ds_write2_b32 v104, v2, v9 offset1:10
	v_add_f32_e32 v2, v60, v117
	v_fmac_f32_e32 v1, 0x3f737871, v3
	v_add_f32_e32 v4, v4, v5
	v_fmac_f32_e32 v8, 0xbf167918, v10
	v_add_f32_e32 v5, v101, v60
	v_fmac_f32_e32 v101, -0.5, v2
	v_fmac_f32_e32 v1, 0x3f167918, v10
	v_sub_f32_e32 v2, v58, v60
	v_fmac_f32_e32 v8, 0x3e9e377a, v4
	v_sub_f32_e32 v9, v114, v117
	v_fmamk_f32 v11, v10, 0x3f737871, v101
	v_fmac_f32_e32 v101, 0xbf737871, v10
	v_fmac_f32_e32 v1, 0x3e9e377a, v4
	v_add_f32_e32 v4, v5, v58
	v_add_f32_e32 v2, v2, v9
	v_fmac_f32_e32 v11, 0xbf167918, v3
	v_fmac_f32_e32 v101, 0x3f167918, v3
	v_lshlrev_b32_sdwa v3, v42, v35 dst_sel:DWORD dst_unused:UNUSED_PAD src0_sel:DWORD src1_sel:WORD_0
	v_add_f32_e32 v4, v4, v114
	v_mul_u32_u24_e32 v5, 0xc8, v28
	v_fma_f32 v50, v160, v149, -v50
	v_add_f32_e32 v9, v52, v55
	v_fmac_f32_e32 v11, 0x3e9e377a, v2
	v_fmac_f32_e32 v101, 0x3e9e377a, v2
	v_add_f32_e32 v2, v4, v117
	v_add3_u32 v141, 0, v5, v3
	ds_write2_b32 v104, v12, v103 offset0:20 offset1:30
	v_fma_f32 v3, -0.5, v9, v99
	v_sub_f32_e32 v4, v54, v52
	v_sub_f32_e32 v5, v50, v132
	ds_write_b32 v104, v0 offset:160
	v_sub_f32_e32 v0, v56, v55
	ds_write2_b32 v141, v2, v8 offset1:10
	v_add_f32_e32 v2, v54, v56
	v_fmamk_f32 v8, v5, 0xbf737871, v3
	v_sub_f32_e32 v9, v51, v53
	v_fmac_f32_e32 v3, 0x3f737871, v5
	v_add_f32_e32 v0, v4, v0
	v_add_f32_e32 v4, v99, v54
	v_fmac_f32_e32 v99, -0.5, v2
	v_fmac_f32_e32 v8, 0xbf167918, v9
	v_fmac_f32_e32 v3, 0x3f167918, v9
	v_sub_f32_e32 v2, v52, v54
	v_sub_f32_e32 v10, v55, v56
	v_add_f32_e32 v4, v4, v52
	v_fmamk_f32 v12, v9, 0x3f737871, v99
	v_fmac_f32_e32 v99, 0xbf737871, v9
	v_fmac_f32_e32 v8, 0x3e9e377a, v0
	v_add_f32_e32 v2, v2, v10
	v_add_f32_e32 v4, v4, v55
	v_fmac_f32_e32 v12, 0xbf167918, v5
	v_fmac_f32_e32 v99, 0x3f167918, v5
	;; [unrolled: 1-line block ×3, first 2 shown]
	v_lshlrev_b32_sdwa v0, v42, v29 dst_sel:DWORD dst_unused:UNUSED_PAD src0_sel:DWORD src1_sel:WORD_0
	v_mul_u32_u24_e32 v5, 0xc8, v26
	v_add_f32_e32 v4, v4, v56
	v_fmac_f32_e32 v12, 0x3e9e377a, v2
	v_fmac_f32_e32 v99, 0x3e9e377a, v2
	v_add_f32_e32 v2, v131, v133
	v_add3_u32 v142, 0, v5, v0
	ds_write2_b32 v141, v11, v101 offset0:20 offset1:30
	v_add_f32_e32 v9, v130, v134
	ds_write_b32 v141, v1 offset:160
	v_fma_f32 v2, -0.5, v2, v100
	ds_write2_b32 v142, v4, v8 offset1:10
	v_sub_f32_e32 v4, v106, v107
	v_add_f32_e32 v10, v100, v130
	v_sub_f32_e32 v0, v130, v131
	v_fmac_f32_e32 v100, -0.5, v9
	v_sub_f32_e32 v5, v134, v133
	v_sub_f32_e32 v9, v108, v43
	v_fmamk_f32 v8, v4, 0xbf737871, v2
	v_fmac_f32_e32 v2, 0x3f737871, v4
	v_sub_f32_e32 v1, v131, v130
	v_sub_f32_e32 v11, v133, v134
	v_add_f32_e32 v0, v0, v5
	v_fmac_f32_e32 v8, 0xbf167918, v9
	v_fmac_f32_e32 v2, 0x3f167918, v9
	v_fmamk_f32 v5, v9, 0x3f737871, v100
	v_add_f32_e32 v1, v1, v11
	v_fmac_f32_e32 v100, 0xbf737871, v9
	v_add_f32_e32 v11, v139, v6
	v_add_f32_e32 v9, v10, v131
	v_fmac_f32_e32 v8, 0x3e9e377a, v0
	v_fmac_f32_e32 v2, 0x3e9e377a, v0
	v_add_f32_e32 v0, v138, v7
	v_fmac_f32_e32 v5, 0xbf167918, v4
	v_fmac_f32_e32 v100, 0x3f167918, v4
	v_fma_f32 v143, -0.5, v11, v140
	v_lshlrev_b32_sdwa v10, v42, v33 dst_sel:DWORD dst_unused:UNUSED_PAD src0_sel:DWORD src1_sel:WORD_0
	v_mul_u32_u24_e32 v11, 0xc8, v32
	v_add_f32_e32 v9, v9, v133
	v_add_f32_e32 v4, v140, v138
	v_fmac_f32_e32 v140, -0.5, v0
	v_fmac_f32_e32 v5, 0x3e9e377a, v1
	v_fmac_f32_e32 v100, 0x3e9e377a, v1
	v_add3_u32 v145, 0, v11, v10
	v_add_f32_e32 v1, v9, v134
	ds_write2_b32 v142, v12, v99 offset0:20 offset1:30
	ds_write_b32 v142, v3 offset:160
	ds_write2_b32 v145, v1, v8 offset1:10
	ds_write2_b32 v145, v5, v100 offset0:20 offset1:30
	ds_write_b32 v145, v2 offset:160
	v_sub_f32_e32 v0, v139, v138
	v_sub_f32_e32 v1, v6, v7
	v_fmamk_f32 v138, v136, 0xbf737871, v140
	v_fmac_f32_e32 v140, 0x3f737871, v136
	v_add_f32_e32 v4, v4, v139
	v_add_nc_u32_e32 v26, 0x1400, v38
	v_add_f32_e32 v139, v0, v1
	v_fmac_f32_e32 v138, 0x3f167918, v135
	v_fmac_f32_e32 v140, 0xbf167918, v135
	v_add_f32_e32 v4, v4, v6
	v_add_nc_u32_e32 v27, 0x2a00, v38
	v_add_nc_u32_e32 v35, 0x3200, v38
	;; [unrolled: 1-line block ×4, first 2 shown]
	v_fmac_f32_e32 v138, 0x3e9e377a, v139
	v_fmac_f32_e32 v140, 0x3e9e377a, v139
	v_add_nc_u32_e32 v28, 0x1800, v38
	v_lshl_add_u32 v31, v90, 2, 0
	v_add_nc_u32_e32 v37, 0x2000, v38
	v_add_nc_u32_e32 v40, 0x2500, v38
	;; [unrolled: 1-line block ×3, first 2 shown]
	v_lshl_add_u32 v32, v91, 2, 0
	v_add_nc_u32_e32 v30, 0x1c00, v38
	v_lshl_add_u32 v33, v92, 2, 0
	v_fmamk_f32 v144, v135, 0x3f737871, v143
	v_add_f32_e32 v146, v4, v7
	s_waitcnt lgkmcnt(0)
	s_barrier
	buffer_gl0_inv
	ds_read_b32 v103, v38
	ds_read_b32 v101, v98
	;; [unrolled: 1-line block ×10, first 2 shown]
	ds_read2_b32 v[16:17], v26 offset0:70 offset1:205
	ds_read2_b32 v[18:19], v27 offset0:12 offset1:147
	;; [unrolled: 1-line block ×10, first 2 shown]
	s_waitcnt lgkmcnt(0)
	s_barrier
	buffer_gl0_inv
	v_fmac_f32_e32 v143, 0xbf737871, v135
	v_add_f32_e32 v135, v121, v124
	ds_write2_b32 v128, v138, v140 offset0:20 offset1:30
	v_add_f32_e32 v138, v129, v120
	v_add_f32_e32 v139, v120, v125
	v_sub_f32_e32 v122, v122, v127
	v_fma_f32 v127, -0.5, v135, v129
	v_sub_f32_e32 v123, v123, v126
	v_add_f32_e32 v126, v138, v121
	v_fmac_f32_e32 v129, -0.5, v139
	v_fmac_f32_e32 v144, 0x3f167918, v136
	v_fmac_f32_e32 v143, 0xbf167918, v136
	v_sub_f32_e32 v135, v120, v121
	v_sub_f32_e32 v136, v125, v124
	v_add_f32_e32 v126, v126, v124
	v_sub_f32_e32 v120, v121, v120
	v_sub_f32_e32 v121, v124, v125
	v_fmamk_f32 v124, v123, 0xbf737871, v129
	v_fmac_f32_e32 v129, 0x3f737871, v123
	v_fmamk_f32 v138, v122, 0x3f737871, v127
	v_fmac_f32_e32 v127, 0xbf737871, v122
	v_add_f32_e32 v120, v120, v121
	v_fmac_f32_e32 v124, 0x3f167918, v122
	v_fmac_f32_e32 v129, 0xbf167918, v122
	;; [unrolled: 1-line block ×4, first 2 shown]
	v_add_f32_e32 v121, v113, v115
	v_fmac_f32_e32 v124, 0x3e9e377a, v120
	v_fmac_f32_e32 v129, 0x3e9e377a, v120
	v_sub_f32_e32 v111, v111, v119
	v_sub_f32_e32 v119, v110, v113
	;; [unrolled: 1-line block ×3, first 2 shown]
	v_add_f32_e32 v122, v110, v116
	v_add_f32_e32 v123, v48, v110
	v_fma_f32 v121, -0.5, v121, v48
	v_sub_f32_e32 v112, v112, v118
	v_add_f32_e32 v118, v119, v120
	v_fmac_f32_e32 v48, -0.5, v122
	v_add_f32_e32 v120, v123, v113
	v_fmamk_f32 v119, v111, 0x3f737871, v121
	v_sub_f32_e32 v110, v113, v110
	v_fmac_f32_e32 v121, 0xbf737871, v111
	v_sub_f32_e32 v113, v115, v116
	v_fmamk_f32 v122, v112, 0xbf737871, v48
	v_fmac_f32_e32 v48, 0x3f737871, v112
	v_add_f32_e32 v115, v120, v115
	v_fmac_f32_e32 v119, 0x3f167918, v112
	v_fmac_f32_e32 v121, 0xbf167918, v112
	;; [unrolled: 1-line block ×4, first 2 shown]
	v_add_f32_e32 v111, v115, v116
	v_add_f32_e32 v112, v59, v61
	;; [unrolled: 1-line block ×5, first 2 shown]
	v_sub_f32_e32 v58, v58, v114
	v_fma_f32 v112, -0.5, v112, v47
	v_fmac_f32_e32 v47, -0.5, v115
	v_fmac_f32_e32 v122, 0x3e9e377a, v110
	v_fmac_f32_e32 v48, 0x3e9e377a, v110
	v_sub_f32_e32 v60, v60, v117
	v_sub_f32_e32 v110, v57, v59
	v_add_f32_e32 v114, v116, v59
	v_sub_f32_e32 v57, v59, v57
	v_sub_f32_e32 v59, v61, v109
	v_fmamk_f32 v115, v58, 0xbf737871, v47
	v_fmac_f32_e32 v47, 0x3f737871, v58
	v_sub_f32_e32 v113, v109, v61
	v_add_f32_e32 v61, v114, v61
	v_add_f32_e32 v57, v57, v59
	v_fmac_f32_e32 v115, 0x3f167918, v60
	v_fmac_f32_e32 v47, 0xbf167918, v60
	v_add_f32_e32 v59, v51, v53
	v_add_f32_e32 v110, v110, v113
	v_fmamk_f32 v113, v60, 0x3f737871, v112
	v_fmac_f32_e32 v112, 0xbf737871, v60
	v_add_f32_e32 v60, v50, v132
	v_fmac_f32_e32 v115, 0x3e9e377a, v57
	v_fmac_f32_e32 v47, 0x3e9e377a, v57
	v_sub_f32_e32 v54, v54, v56
	v_sub_f32_e32 v56, v50, v51
	;; [unrolled: 1-line block ×3, first 2 shown]
	v_fma_f32 v59, -0.5, v59, v46
	v_fmac_f32_e32 v113, 0x3f167918, v58
	v_fmac_f32_e32 v112, 0xbf167918, v58
	v_add_f32_e32 v58, v61, v109
	v_add_f32_e32 v61, v46, v50
	v_sub_f32_e32 v52, v52, v55
	v_fmac_f32_e32 v46, -0.5, v60
	v_add_f32_e32 v55, v56, v57
	v_fmamk_f32 v56, v54, 0x3f737871, v59
	v_fmac_f32_e32 v59, 0xbf737871, v54
	v_add_f32_e32 v57, v61, v51
	v_sub_f32_e32 v50, v51, v50
	v_sub_f32_e32 v51, v53, v132
	v_fmamk_f32 v60, v52, 0xbf737871, v46
	v_fmac_f32_e32 v46, 0x3f737871, v52
	v_fmac_f32_e32 v56, 0x3f167918, v52
	;; [unrolled: 1-line block ×3, first 2 shown]
	v_add_f32_e32 v135, v135, v136
	v_add_f32_e32 v53, v57, v53
	;; [unrolled: 1-line block ×3, first 2 shown]
	v_fmac_f32_e32 v60, 0x3f167918, v54
	v_fmac_f32_e32 v46, 0xbf167918, v54
	v_add_f32_e32 v52, v108, v43
	v_fmac_f32_e32 v56, 0x3e9e377a, v55
	v_fmac_f32_e32 v59, 0x3e9e377a, v55
	v_add_f32_e32 v55, v106, v107
	;; [unrolled: 3-line block ×3, first 2 shown]
	v_fmac_f32_e32 v138, 0x3e9e377a, v135
	v_add_f32_e32 v51, v53, v132
	v_fmac_f32_e32 v60, 0x3e9e377a, v50
	v_fmac_f32_e32 v46, 0x3e9e377a, v50
	v_sub_f32_e32 v50, v130, v134
	v_sub_f32_e32 v53, v106, v108
	;; [unrolled: 1-line block ×3, first 2 shown]
	v_fma_f32 v52, -0.5, v52, v22
	v_add_f32_e32 v57, v22, v106
	v_fmac_f32_e32 v127, 0x3e9e377a, v135
	v_fmac_f32_e32 v121, 0x3e9e377a, v118
	v_sub_f32_e32 v61, v131, v133
	v_fmac_f32_e32 v22, -0.5, v55
	v_fmac_f32_e32 v119, 0x3e9e377a, v118
	v_fmac_f32_e32 v113, 0x3e9e377a, v110
	ds_write2_b32 v128, v146, v144 offset1:10
	ds_write_b32 v128, v143 offset:160
	ds_write2_b32 v105, v126, v138 offset1:10
	v_fmac_f32_e32 v112, 0x3e9e377a, v110
	v_add_f32_e32 v53, v53, v54
	v_fmamk_f32 v109, v50, 0x3f737871, v52
	v_add_f32_e32 v54, v57, v108
	ds_write2_b32 v105, v124, v129 offset0:20 offset1:30
	ds_write_b32 v105, v127 offset:160
	ds_write2_b32 v104, v111, v119 offset1:10
	ds_write2_b32 v104, v122, v48 offset0:20 offset1:30
	ds_write_b32 v104, v121 offset:160
	ds_write2_b32 v141, v58, v113 offset1:10
	ds_write2_b32 v141, v115, v47 offset0:20 offset1:30
	v_lshrrev_b16 v47, 1, v85
	v_mov_b32_e32 v114, 0x147b
	v_sub_f32_e32 v55, v108, v106
	v_sub_f32_e32 v57, v43, v107
	v_fmamk_f32 v106, v61, 0xbf737871, v22
	v_fmac_f32_e32 v22, 0x3f737871, v61
	v_fmac_f32_e32 v109, 0x3f167918, v61
	v_add_f32_e32 v43, v54, v43
	ds_write_b32 v141, v112 offset:160
	ds_write2_b32 v142, v51, v56 offset1:10
	ds_write2_b32 v142, v60, v46 offset0:20 offset1:30
	ds_write_b32 v142, v59 offset:160
	v_mul_u32_u24_sdwa v46, v47, v114 dst_sel:DWORD dst_unused:UNUSED_PAD src0_sel:WORD_0 src1_sel:DWORD
	v_add_f32_e32 v54, v55, v57
	v_fmac_f32_e32 v106, 0x3f167918, v50
	v_fmac_f32_e32 v22, 0xbf167918, v50
	;; [unrolled: 1-line block ×3, first 2 shown]
	v_add_f32_e32 v50, v43, v107
	v_fmac_f32_e32 v109, 0x3e9e377a, v53
	v_lshrrev_b32_e32 v55, 17, v46
	v_fmac_f32_e32 v106, 0x3e9e377a, v54
	v_fmac_f32_e32 v22, 0x3e9e377a, v54
	ds_write2_b32 v145, v50, v109 offset1:10
	ds_write2_b32 v145, v106, v22 offset0:20 offset1:30
	v_lshrrev_b16 v46, 1, v84
	v_mul_lo_u16 v48, v55, 50
	v_lshrrev_b16 v22, 1, v86
	v_mul_lo_u16 v43, v102, 41
	v_fmac_f32_e32 v52, 0xbf167918, v61
	v_mul_u32_u24_sdwa v50, v46, v114 dst_sel:DWORD dst_unused:UNUSED_PAD src0_sel:WORD_0 src1_sel:DWORD
	v_sub_nc_u16 v59, v85, v48
	v_mul_u32_u24_sdwa v48, v22, v114 dst_sel:DWORD dst_unused:UNUSED_PAD src0_sel:WORD_0 src1_sel:DWORD
	v_lshrrev_b16 v54, 11, v43
	v_fmac_f32_e32 v52, 0x3e9e377a, v53
	v_lshrrev_b32_e32 v58, 17, v50
	v_lshrrev_b16 v50, 1, v87
	v_lshrrev_b32_e32 v56, 17, v48
	v_mul_lo_u16 v43, v54, 50
	ds_write_b32 v145, v52 offset:160
	v_mul_lo_u16 v51, v58, 50
	s_waitcnt lgkmcnt(0)
	v_mul_lo_u16 v48, v56, 50
	v_sub_nc_u16 v57, v80, v43
	v_mov_b32_e32 v43, 4
	v_sub_nc_u16 v102, v84, v51
	v_mul_u32_u24_sdwa v51, v50, v114 dst_sel:DWORD dst_unused:UNUSED_PAD src0_sel:WORD_0 src1_sel:DWORD
	v_sub_nc_u16 v104, v86, v48
	s_barrier
	v_lshlrev_b32_sdwa v47, v43, v57 dst_sel:DWORD dst_unused:UNUSED_PAD src0_sel:DWORD src1_sel:BYTE_0
	buffer_gl0_inv
	v_lshrrev_b32_e32 v61, 17, v51
	v_lshlrev_b32_sdwa v51, v43, v104 dst_sel:DWORD dst_unused:UNUSED_PAD src0_sel:DWORD src1_sel:WORD_0
	v_lshlrev_b32_sdwa v52, v43, v102 dst_sel:DWORD dst_unused:UNUSED_PAD src0_sel:DWORD src1_sel:WORD_0
	global_load_dwordx4 v[105:108], v47, s[8:9] offset:320
	v_mul_lo_u16 v53, v61, 50
	global_load_dwordx4 v[119:122], v51, s[8:9] offset:320
	v_lshlrev_b32_sdwa v47, v43, v59 dst_sel:DWORD dst_unused:UNUSED_PAD src0_sel:DWORD src1_sel:WORD_0
	global_load_dwordx4 v[115:118], v52, s[8:9] offset:320
	v_lshrrev_b16 v52, 1, v89
	v_sub_nc_u16 v137, v87, v53
	v_lshrrev_b16 v51, 1, v90
	global_load_dwordx4 v[110:113], v47, s[8:9] offset:320
	v_lshrrev_b16 v47, 1, v88
	v_mul_u32_u24_sdwa v53, v52, v114 dst_sel:DWORD dst_unused:UNUSED_PAD src0_sel:WORD_0 src1_sel:DWORD
	v_lshlrev_b32_sdwa v109, v43, v137 dst_sel:DWORD dst_unused:UNUSED_PAD src0_sel:DWORD src1_sel:WORD_0
	v_mul_u32_u24_sdwa v48, v47, v114 dst_sel:DWORD dst_unused:UNUSED_PAD src0_sel:WORD_0 src1_sel:DWORD
	v_lshrrev_b32_e32 v134, 17, v53
	v_mul_u32_u24_sdwa v53, v51, v114 dst_sel:DWORD dst_unused:UNUSED_PAD src0_sel:WORD_0 src1_sel:DWORD
	global_load_dwordx4 v[125:128], v109, s[8:9] offset:320
	v_lshrrev_b32_e32 v60, 17, v48
	v_lshrrev_b32_e32 v140, 17, v53
	v_lshrrev_b16 v53, 1, v92
	v_mul_lo_u16 v48, v60, 50
	v_sub_nc_u16 v138, v88, v48
	v_lshrrev_b16 v48, 1, v91
	v_lshlrev_b32_sdwa v123, v43, v138 dst_sel:DWORD dst_unused:UNUSED_PAD src0_sel:DWORD src1_sel:WORD_0
	v_mul_u32_u24_sdwa v124, v48, v114 dst_sel:DWORD dst_unused:UNUSED_PAD src0_sel:WORD_0 src1_sel:DWORD
	global_load_dwordx4 v[141:144], v123, s[8:9] offset:320
	v_mul_lo_u16 v109, v134, 50
	v_lshrrev_b32_e32 v164, 17, v124
	v_sub_nc_u16 v163, v89, v109
	v_mul_lo_u16 v109, v140, 50
	v_lshlrev_b32_sdwa v123, v43, v163 dst_sel:DWORD dst_unused:UNUSED_PAD src0_sel:DWORD src1_sel:WORD_0
	v_sub_nc_u16 v165, v90, v109
	v_mul_u32_u24_sdwa v109, v53, v114 dst_sel:DWORD dst_unused:UNUSED_PAD src0_sel:WORD_0 src1_sel:DWORD
	v_mul_lo_u16 v114, v164, 50
	global_load_dwordx4 v[145:148], v123, s[8:9] offset:320
	v_lshrrev_b32_e32 v139, 17, v109
	v_lshlrev_b32_sdwa v109, v43, v165 dst_sel:DWORD dst_unused:UNUSED_PAD src0_sel:DWORD src1_sel:WORD_0
	v_sub_nc_u16 v166, v91, v114
	v_mul_lo_u16 v114, v139, 50
	global_load_dwordx4 v[149:152], v109, s[8:9] offset:320
	v_lshlrev_b32_sdwa v109, v43, v166 dst_sel:DWORD dst_unused:UNUSED_PAD src0_sel:DWORD src1_sel:WORD_0
	v_sub_nc_u16 v167, v92, v114
	global_load_dwordx4 v[153:156], v109, s[8:9] offset:320
	v_lshlrev_b32_sdwa v109, v43, v167 dst_sel:DWORD dst_unused:UNUSED_PAD src0_sel:DWORD src1_sel:WORD_0
	global_load_dwordx4 v[157:160], v109, s[8:9] offset:320
	ds_read2_b32 v[123:124], v26 offset0:70 offset1:205
	ds_read2_b32 v[129:130], v27 offset0:12 offset1:147
	;; [unrolled: 1-line block ×5, first 2 shown]
	s_waitcnt vmcnt(9) lgkmcnt(4)
	v_mul_f32_e32 v168, v123, v106
	v_mul_f32_e32 v106, v16, v106
	s_waitcnt lgkmcnt(3)
	v_mul_f32_e32 v169, v129, v108
	v_mul_f32_e32 v108, v18, v108
	v_fmac_f32_e32 v168, v16, v105
	v_fma_f32 v170, v123, v105, -v106
	v_fmac_f32_e32 v169, v18, v107
	v_fma_f32 v171, v129, v107, -v108
	s_waitcnt vmcnt(6)
	v_mul_f32_e32 v109, v124, v111
	v_mul_f32_e32 v16, v17, v111
	;; [unrolled: 1-line block ×4, first 2 shown]
	s_waitcnt lgkmcnt(2)
	v_mul_f32_e32 v113, v131, v116
	v_fmac_f32_e32 v109, v17, v110
	v_fma_f32 v123, v124, v110, -v16
	ds_read2_b32 v[16:17], v30 offset0:98 offset1:233
	v_mul_f32_e32 v106, v14, v116
	v_fmac_f32_e32 v113, v14, v115
	v_mul_f32_e32 v107, v132, v120
	v_mul_f32_e32 v14, v15, v120
	v_fmac_f32_e32 v114, v19, v112
	ds_read2_b32 v[18:19], v35 offset0:40 offset1:175
	v_fma_f32 v129, v130, v112, -v105
	s_waitcnt lgkmcnt(3)
	v_mul_f32_e32 v124, v135, v118
	v_mul_f32_e32 v105, v12, v118
	v_fmac_f32_e32 v107, v15, v119
	v_fma_f32 v118, v132, v119, -v14
	ds_read2_b32 v[14:15], v37 offset0:112 offset1:247
	v_fma_f32 v133, v131, v115, -v106
	v_mul_f32_e32 v111, v136, v122
	s_waitcnt vmcnt(5)
	v_mul_f32_e32 v106, v8, v126
	v_fmac_f32_e32 v124, v12, v117
	v_fma_f32 v117, v135, v117, -v105
	v_mul_f32_e32 v105, v13, v122
	v_fmac_f32_e32 v111, v13, v121
	s_waitcnt lgkmcnt(2)
	v_mul_f32_e32 v112, v16, v126
	ds_read2_b32 v[12:13], v39 offset0:54 offset1:189
	v_fma_f32 v131, v16, v125, -v106
	v_fma_f32 v130, v136, v121, -v105
	s_waitcnt vmcnt(4)
	v_mul_f32_e32 v108, v17, v142
	v_fmac_f32_e32 v112, v8, v125
	v_mul_f32_e32 v8, v9, v142
	v_mul_f32_e32 v105, v10, v128
	s_waitcnt lgkmcnt(2)
	v_mul_f32_e32 v119, v18, v128
	v_fmac_f32_e32 v108, v9, v141
	v_mul_f32_e32 v110, v19, v144
	v_fma_f32 v125, v17, v141, -v8
	ds_read2_b32 v[8:9], v41 offset0:68 offset1:203
	v_fma_f32 v120, v18, v127, -v105
	v_fmac_f32_e32 v119, v10, v127
	v_fmac_f32_e32 v110, v11, v143
	v_mul_f32_e32 v10, v11, v144
	s_waitcnt vmcnt(3) lgkmcnt(2)
	v_mul_f32_e32 v105, v14, v146
	v_mul_f32_e32 v11, v4, v146
	s_waitcnt lgkmcnt(1)
	v_mul_f32_e32 v115, v12, v148
	v_fma_f32 v136, v19, v143, -v10
	v_mul_f32_e32 v10, v6, v148
	v_fmac_f32_e32 v105, v4, v145
	v_fma_f32 v126, v14, v145, -v11
	v_fmac_f32_e32 v115, v6, v147
	s_waitcnt vmcnt(2)
	v_mul_f32_e32 v122, v15, v150
	v_mul_f32_e32 v4, v5, v150
	;; [unrolled: 1-line block ×4, first 2 shown]
	v_fma_f32 v121, v12, v147, -v10
	v_fmac_f32_e32 v122, v5, v149
	s_waitcnt vmcnt(1)
	v_mul_f32_e32 v106, v161, v154
	v_fma_f32 v135, v15, v149, -v4
	v_mul_f32_e32 v4, v2, v154
	v_mul_f32_e32 v5, v0, v156
	v_fmac_f32_e32 v127, v7, v151
	v_fmac_f32_e32 v106, v2, v153
	s_waitcnt lgkmcnt(0)
	v_mul_f32_e32 v2, v8, v156
	v_fma_f32 v128, v161, v153, -v4
	s_waitcnt vmcnt(0)
	v_mul_f32_e32 v116, v162, v158
	v_mul_f32_e32 v4, v3, v158
	v_fma_f32 v132, v13, v151, -v6
	v_fmac_f32_e32 v2, v0, v155
	v_fma_f32 v0, v8, v155, -v5
	v_fmac_f32_e32 v116, v3, v157
	v_mov_b32_e32 v3, 0x258
	v_add_f32_e32 v5, v168, v169
	v_fma_f32 v141, v162, v157, -v4
	v_mul_f32_e32 v142, v9, v160
	v_mul_f32_e32 v4, v1, v160
	v_mul_u32_u24_sdwa v3, v54, v3 dst_sel:DWORD dst_unused:UNUSED_PAD src0_sel:WORD_0 src1_sel:DWORD
	v_lshlrev_b32_sdwa v6, v42, v57 dst_sel:DWORD dst_unused:UNUSED_PAD src0_sel:DWORD src1_sel:BYTE_0
	v_add_f32_e32 v7, v103, v168
	v_fmac_f32_e32 v103, -0.5, v5
	v_sub_f32_e32 v5, v170, v171
	v_fmac_f32_e32 v142, v1, v159
	v_fma_f32 v1, v9, v159, -v4
	v_add3_u32 v3, 0, v3, v6
	v_add_f32_e32 v4, v7, v169
	v_fmamk_f32 v6, v5, 0xbf5db3d7, v103
	v_add_f32_e32 v7, v109, v114
	v_fmac_f32_e32 v103, 0x3f5db3d7, v5
	ds_read_b32 v54, v38
	ds_read_b32 v57, v98
	;; [unrolled: 1-line block ×10, first 2 shown]
	s_waitcnt lgkmcnt(0)
	s_barrier
	buffer_gl0_inv
	v_add_f32_e32 v5, v101, v109
	v_mul_u32_u24_e32 v8, 0x258, v55
	v_lshlrev_b32_sdwa v9, v42, v59 dst_sel:DWORD dst_unused:UNUSED_PAD src0_sel:DWORD src1_sel:WORD_0
	v_fmac_f32_e32 v101, -0.5, v7
	v_sub_f32_e32 v7, v123, v129
	ds_write2_b32 v3, v4, v6 offset1:50
	ds_write_b32 v3, v103 offset:400
	v_add_f32_e32 v6, v113, v124
	v_add3_u32 v55, 0, v8, v9
	v_add_f32_e32 v4, v5, v114
	v_fmamk_f32 v5, v7, 0xbf5db3d7, v101
	v_fmac_f32_e32 v101, 0x3f5db3d7, v7
	v_add_f32_e32 v7, v99, v113
	v_mul_u32_u24_e32 v8, 0x258, v58
	v_lshlrev_b32_sdwa v9, v42, v102 dst_sel:DWORD dst_unused:UNUSED_PAD src0_sel:DWORD src1_sel:WORD_0
	v_fmac_f32_e32 v99, -0.5, v6
	v_sub_f32_e32 v6, v133, v117
	ds_write2_b32 v55, v4, v5 offset1:50
	ds_write_b32 v55, v101 offset:400
	v_add_f32_e32 v4, v7, v124
	v_add3_u32 v58, 0, v8, v9
	v_add_f32_e32 v7, v107, v111
	v_fmamk_f32 v5, v6, 0xbf5db3d7, v99
	v_fmac_f32_e32 v99, 0x3f5db3d7, v6
	v_add_f32_e32 v6, v100, v107
	v_mul_u32_u24_e32 v8, 0x258, v56
	v_lshlrev_b32_sdwa v9, v42, v104 dst_sel:DWORD dst_unused:UNUSED_PAD src0_sel:DWORD src1_sel:WORD_0
	v_fmac_f32_e32 v100, -0.5, v7
	v_sub_f32_e32 v7, v118, v130
	ds_write2_b32 v58, v4, v5 offset1:50
	ds_write_b32 v58, v99 offset:400
	v_add_f32_e32 v4, v6, v111
	v_add_f32_e32 v6, v112, v119
	v_add3_u32 v56, 0, v8, v9
	v_fmamk_f32 v5, v7, 0xbf5db3d7, v100
	v_fmac_f32_e32 v100, 0x3f5db3d7, v7
	v_add_f32_e32 v7, v49, v112
	v_fmac_f32_e32 v49, -0.5, v6
	v_sub_f32_e32 v6, v131, v120
	v_mul_u32_u24_e32 v8, 0x258, v61
	v_lshlrev_b32_sdwa v9, v42, v137 dst_sel:DWORD dst_unused:UNUSED_PAD src0_sel:DWORD src1_sel:WORD_0
	ds_write2_b32 v56, v4, v5 offset1:50
	ds_write_b32 v56, v100 offset:400
	v_add_f32_e32 v4, v7, v119
	v_fmamk_f32 v5, v6, 0xbf5db3d7, v49
	v_fmac_f32_e32 v49, 0x3f5db3d7, v6
	v_add_f32_e32 v6, v108, v110
	v_add3_u32 v59, 0, v8, v9
	v_mul_u32_u24_e32 v7, 0x258, v60
	v_lshlrev_b32_sdwa v8, v42, v138 dst_sel:DWORD dst_unused:UNUSED_PAD src0_sel:DWORD src1_sel:WORD_0
	v_add_f32_e32 v9, v44, v108
	v_fmac_f32_e32 v44, -0.5, v6
	v_add_f32_e32 v6, v105, v115
	ds_write2_b32 v59, v4, v5 offset1:50
	v_add3_u32 v60, 0, v7, v8
	v_mul_u32_u24_e32 v7, 0x258, v134
	v_lshlrev_b32_sdwa v8, v42, v163 dst_sel:DWORD dst_unused:UNUSED_PAD src0_sel:DWORD src1_sel:WORD_0
	v_add_f32_e32 v4, v9, v110
	v_sub_f32_e32 v5, v125, v136
	v_add_f32_e32 v9, v45, v105
	v_fmac_f32_e32 v45, -0.5, v6
	v_add_f32_e32 v6, v122, v127
	v_add3_u32 v61, 0, v7, v8
	v_sub_f32_e32 v7, v126, v121
	v_fmamk_f32 v10, v5, 0xbf5db3d7, v44
	v_fmac_f32_e32 v44, 0x3f5db3d7, v5
	v_add_f32_e32 v5, v9, v115
	v_add_f32_e32 v8, v25, v122
	v_mul_u32_u24_e32 v9, 0x258, v140
	v_lshlrev_b32_sdwa v11, v42, v165 dst_sel:DWORD dst_unused:UNUSED_PAD src0_sel:DWORD src1_sel:WORD_0
	v_fmac_f32_e32 v25, -0.5, v6
	v_sub_f32_e32 v6, v135, v132
	v_fmamk_f32 v12, v7, 0xbf5db3d7, v45
	v_fmac_f32_e32 v45, 0x3f5db3d7, v7
	v_add3_u32 v99, 0, v9, v11
	v_add_f32_e32 v7, v8, v127
	v_fmamk_f32 v8, v6, 0xbf5db3d7, v25
	ds_write_b32 v59, v49 offset:400
	ds_write2_b32 v60, v4, v10 offset1:50
	ds_write_b32 v60, v44 offset:400
	ds_write2_b32 v61, v5, v12 offset1:50
	ds_write_b32 v61, v45 offset:400
	ds_write2_b32 v99, v7, v8 offset1:50
	v_add_f32_e32 v4, v106, v2
	v_fmac_f32_e32 v25, 0x3f5db3d7, v6
	v_mul_u32_u24_e32 v5, 0x258, v164
	v_lshlrev_b32_sdwa v6, v42, v166 dst_sel:DWORD dst_unused:UNUSED_PAD src0_sel:DWORD src1_sel:WORD_0
	v_add_f32_e32 v7, v24, v106
	v_fmac_f32_e32 v24, -0.5, v4
	v_sub_f32_e32 v4, v128, v0
	v_add_f32_e32 v8, v23, v116
	v_add3_u32 v100, 0, v5, v6
	v_add_f32_e32 v5, v7, v2
	v_add_f32_e32 v6, v116, v142
	v_fmamk_f32 v7, v4, 0xbf5db3d7, v24
	v_fmac_f32_e32 v24, 0x3f5db3d7, v4
	v_add_f32_e32 v4, v8, v142
	v_add_f32_e32 v8, v170, v171
	ds_write_b32 v99, v25 offset:400
	v_mul_u32_u24_e32 v9, 0x258, v139
	v_lshlrev_b32_sdwa v10, v42, v167 dst_sel:DWORD dst_unused:UNUSED_PAD src0_sel:DWORD src1_sel:WORD_0
	v_fmac_f32_e32 v23, -0.5, v6
	v_sub_f32_e32 v6, v141, v1
	ds_write2_b32 v100, v5, v7 offset1:50
	v_add_f32_e32 v7, v54, v170
	v_fmac_f32_e32 v54, -0.5, v8
	v_sub_f32_e32 v103, v168, v169
	v_add3_u32 v101, 0, v9, v10
	v_fmamk_f32 v5, v6, 0xbf5db3d7, v23
	v_fmac_f32_e32 v23, 0x3f5db3d7, v6
	v_add_f32_e32 v102, v7, v171
	v_add_f32_e32 v104, v123, v129
	v_fmamk_f32 v134, v103, 0x3f5db3d7, v54
	v_fmac_f32_e32 v54, 0xbf5db3d7, v103
	ds_write_b32 v100, v24 offset:400
	ds_write2_b32 v101, v4, v5 offset1:50
	ds_write_b32 v101, v23 offset:400
	s_waitcnt lgkmcnt(0)
	s_barrier
	buffer_gl0_inv
	ds_read_b32 v49, v38
	ds_read_b32 v45, v98
	;; [unrolled: 1-line block ×10, first 2 shown]
	ds_read2_b32 v[152:153], v26 offset0:70 offset1:205
	ds_read2_b32 v[154:155], v27 offset0:12 offset1:147
	;; [unrolled: 1-line block ×10, first 2 shown]
	s_waitcnt lgkmcnt(0)
	s_barrier
	buffer_gl0_inv
	v_add_f32_e32 v103, v57, v123
	v_fmac_f32_e32 v57, -0.5, v104
	v_sub_f32_e32 v104, v109, v114
	ds_write2_b32 v3, v102, v134 offset1:50
	ds_write_b32 v3, v54 offset:400
	v_add_f32_e32 v3, v133, v117
	v_add_f32_e32 v54, v103, v129
	;; [unrolled: 1-line block ×3, first 2 shown]
	v_fmamk_f32 v102, v104, 0x3f5db3d7, v57
	v_fmac_f32_e32 v57, 0xbf5db3d7, v104
	v_fmac_f32_e32 v143, -0.5, v3
	v_sub_f32_e32 v3, v113, v124
	ds_write2_b32 v55, v54, v102 offset1:50
	ds_write_b32 v55, v57 offset:400
	v_add_f32_e32 v54, v118, v130
	v_add_f32_e32 v55, v103, v117
	v_fmamk_f32 v57, v3, 0x3f5db3d7, v143
	v_fmac_f32_e32 v143, 0xbf5db3d7, v3
	v_add_f32_e32 v3, v149, v118
	v_fmac_f32_e32 v149, -0.5, v54
	v_sub_f32_e32 v54, v107, v111
	ds_write2_b32 v58, v55, v57 offset1:50
	ds_write_b32 v58, v143 offset:400
	v_add_f32_e32 v55, v131, v120
	v_add_f32_e32 v3, v3, v130
	;; [unrolled: 1-line block ×3, first 2 shown]
	v_fmamk_f32 v57, v54, 0x3f5db3d7, v149
	v_fmac_f32_e32 v149, 0xbf5db3d7, v54
	v_add_f32_e32 v54, v148, v131
	v_fmac_f32_e32 v148, -0.5, v55
	v_sub_f32_e32 v55, v112, v119
	ds_write2_b32 v56, v3, v57 offset1:50
	ds_write_b32 v56, v149 offset:400
	v_add_f32_e32 v3, v125, v136
	v_add_f32_e32 v54, v54, v120
	;; [unrolled: 1-line block ×3, first 2 shown]
	v_fmamk_f32 v56, v55, 0x3f5db3d7, v148
	v_fmac_f32_e32 v148, 0xbf5db3d7, v55
	v_add_f32_e32 v55, v144, v125
	ds_write2_b32 v59, v54, v56 offset1:50
	ds_write_b32 v59, v148 offset:400
	v_fmac_f32_e32 v144, -0.5, v3
	v_add_f32_e32 v54, v55, v136
	v_add_f32_e32 v55, v126, v121
	v_sub_f32_e32 v3, v108, v110
	v_add_f32_e32 v103, v146, v128
	v_mov_b32_e32 v107, 0xda75
	v_add_f32_e32 v57, v57, v121
	v_fmac_f32_e32 v150, -0.5, v55
	v_sub_f32_e32 v55, v105, v115
	v_fmamk_f32 v56, v3, 0x3f5db3d7, v144
	v_fmac_f32_e32 v144, 0xbf5db3d7, v3
	v_add_f32_e32 v3, v135, v132
	v_mul_u32_u24_sdwa v46, v46, v107 dst_sel:DWORD dst_unused:UNUSED_PAD src0_sel:WORD_0 src1_sel:DWORD
	v_fmamk_f32 v59, v55, 0x3f5db3d7, v150
	v_fmac_f32_e32 v150, 0xbf5db3d7, v55
	v_add_f32_e32 v55, v58, v132
	v_add_f32_e32 v58, v128, v0
	v_fmac_f32_e32 v145, -0.5, v3
	v_sub_f32_e32 v3, v122, v127
	ds_write2_b32 v60, v54, v56 offset1:50
	v_add_nc_u32_e32 v54, -15, v80
	v_fmac_f32_e32 v146, -0.5, v58
	v_add_f32_e32 v58, v147, v141
	v_fmamk_f32 v102, v3, 0x3f5db3d7, v145
	v_fmac_f32_e32 v145, 0xbf5db3d7, v3
	v_add_f32_e32 v3, v141, v1
	v_cndmask_b32_e64 v54, v54, v85, s0
	v_add_f32_e32 v58, v58, v1
	v_mov_b32_e32 v1, 0
	ds_write_b32 v60, v144 offset:400
	ds_write2_b32 v61, v57, v59 offset1:50
	ds_write_b32 v61, v150 offset:400
	ds_write2_b32 v99, v55, v102 offset1:50
	v_lshlrev_b32_e32 v55, 1, v54
	v_sub_f32_e32 v2, v106, v2
	v_mov_b32_e32 v56, v1
	v_fmac_f32_e32 v147, -0.5, v3
	v_sub_f32_e32 v3, v116, v142
	v_add_f32_e32 v103, v103, v0
	v_lshlrev_b32_e32 v0, 1, v80
	v_lshlrev_b64 v[56:57], 3, v[55:56]
	v_lshrrev_b32_e32 v55, 22, v46
	v_fmamk_f32 v104, v2, 0x3f5db3d7, v146
	v_fmac_f32_e32 v146, 0xbf5db3d7, v2
	v_fmamk_f32 v105, v3, 0x3f5db3d7, v147
	v_fmac_f32_e32 v147, 0xbf5db3d7, v3
	v_lshlrev_b64 v[2:3], 3, v[0:1]
	v_mul_lo_u16 v46, 0x96, v55
	ds_write_b32 v99, v145 offset:400
	ds_write2_b32 v100, v103, v104 offset1:50
	ds_write_b32 v100, v146 offset:400
	ds_write2_b32 v101, v58, v105 offset1:50
	ds_write_b32 v101, v147 offset:400
	v_add_co_u32 v2, s0, s8, v2
	v_add_co_ci_u32_e64 v3, s0, s9, v3, s0
	v_add_co_u32 v99, s0, s8, v56
	v_sub_nc_u16 v56, v84, v46
	v_mul_u32_u24_sdwa v46, v50, v107 dst_sel:DWORD dst_unused:UNUSED_PAD src0_sel:WORD_0 src1_sel:DWORD
	s_waitcnt lgkmcnt(0)
	v_mul_u32_u24_sdwa v22, v22, v107 dst_sel:DWORD dst_unused:UNUSED_PAD src0_sel:WORD_0 src1_sel:DWORD
	s_barrier
	buffer_gl0_inv
	global_load_dwordx4 v[58:61], v[2:3], off offset:1120
	v_lshrrev_b32_e32 v50, 22, v46
	v_mul_u32_u24_sdwa v46, v47, v107 dst_sel:DWORD dst_unused:UNUSED_PAD src0_sel:WORD_0 src1_sel:DWORD
	v_lshrrev_b32_e32 v22, 22, v22
	v_add_co_ci_u32_e64 v100, s0, s9, v57, s0
	v_mul_lo_u16 v47, 0x96, v50
	v_lshrrev_b32_e32 v160, 22, v46
	v_mul_u32_u24_sdwa v46, v52, v107 dst_sel:DWORD dst_unused:UNUSED_PAD src0_sel:WORD_0 src1_sel:DWORD
	global_load_dwordx4 v[99:102], v[99:100], off offset:1120
	v_mul_lo_u16 v57, 0x96, v22
	v_sub_nc_u16 v161, v87, v47
	v_mul_lo_u16 v47, 0x96, v160
	v_lshrrev_b32_e32 v162, 22, v46
	v_lshlrev_b32_sdwa v103, v43, v56 dst_sel:DWORD dst_unused:UNUSED_PAD src0_sel:DWORD src1_sel:WORD_0
	v_sub_nc_u16 v57, v86, v57
	v_lshlrev_b32_sdwa v52, v43, v161 dst_sel:DWORD dst_unused:UNUSED_PAD src0_sel:DWORD src1_sel:WORD_0
	v_sub_nc_u16 v163, v88, v47
	v_mul_lo_u16 v46, 0x96, v162
	v_mul_u32_u24_sdwa v47, v51, v107 dst_sel:DWORD dst_unused:UNUSED_PAD src0_sel:WORD_0 src1_sel:DWORD
	v_lshlrev_b32_sdwa v108, v43, v57 dst_sel:DWORD dst_unused:UNUSED_PAD src0_sel:DWORD src1_sel:WORD_0
	s_clause 0x1
	global_load_dwordx4 v[103:106], v103, s[8:9] offset:1120
	global_load_dwordx4 v[128:131], v52, s[8:9] offset:1120
	v_sub_nc_u16 v164, v89, v46
	v_lshlrev_b32_sdwa v51, v43, v163 dst_sel:DWORD dst_unused:UNUSED_PAD src0_sel:DWORD src1_sel:WORD_0
	global_load_dwordx4 v[111:114], v108, s[8:9] offset:1120
	v_lshrrev_b32_e32 v165, 22, v47
	v_mul_u32_u24_sdwa v47, v53, v107 dst_sel:DWORD dst_unused:UNUSED_PAD src0_sel:WORD_0 src1_sel:DWORD
	v_lshlrev_b32_sdwa v46, v43, v164 dst_sel:DWORD dst_unused:UNUSED_PAD src0_sel:DWORD src1_sel:WORD_0
	global_load_dwordx4 v[132:135], v51, s[8:9] offset:1120
	v_mul_u32_u24_sdwa v48, v48, v107 dst_sel:DWORD dst_unused:UNUSED_PAD src0_sel:WORD_0 src1_sel:DWORD
	v_cmp_lt_u32_e64 s0, 14, v80
	global_load_dwordx4 v[136:139], v46, s[8:9] offset:1120
	v_lshrrev_b32_e32 v46, 22, v47
	v_mul_lo_u16 v51, 0x96, v165
	v_lshrrev_b32_e32 v48, 22, v48
	v_mul_lo_u16 v46, 0x96, v46
	v_sub_nc_u16 v53, v90, v51
	v_mul_lo_u16 v47, 0x96, v48
	v_sub_nc_u16 v46, v92, v46
	v_lshlrev_b32_sdwa v51, v43, v53 dst_sel:DWORD dst_unused:UNUSED_PAD src0_sel:DWORD src1_sel:WORD_0
	v_sub_nc_u16 v166, v91, v47
	v_and_b32_e32 v167, 0xffff, v46
	global_load_dwordx4 v[140:143], v51, s[8:9] offset:1120
	v_lshlrev_b32_sdwa v46, v43, v166 dst_sel:DWORD dst_unused:UNUSED_PAD src0_sel:DWORD src1_sel:WORD_0
	v_lshlrev_b32_e32 v47, 4, v167
	s_clause 0x1
	global_load_dwordx4 v[144:147], v46, s[8:9] offset:1120
	global_load_dwordx4 v[148:151], v47, s[8:9] offset:1120
	ds_read2_b32 v[46:47], v26 offset0:70 offset1:205
	ds_read2_b32 v[51:52], v27 offset0:12 offset1:147
	;; [unrolled: 1-line block ×4, first 2 shown]
	s_waitcnt vmcnt(9) lgkmcnt(3)
	v_mul_f32_e32 v168, v46, v59
	v_mul_f32_e32 v59, v152, v59
	s_waitcnt lgkmcnt(2)
	v_mul_f32_e32 v169, v51, v61
	v_mul_f32_e32 v61, v154, v61
	v_fmac_f32_e32 v168, v152, v58
	v_fma_f32 v152, v46, v58, -v59
	ds_read2_b32 v[58:59], v30 offset0:98 offset1:233
	v_fmac_f32_e32 v169, v154, v60
	s_waitcnt vmcnt(8)
	v_mul_f32_e32 v126, v47, v100
	v_mul_f32_e32 v46, v153, v100
	v_fma_f32 v154, v51, v60, -v61
	v_mul_f32_e32 v170, v52, v102
	v_mul_f32_e32 v51, v155, v102
	v_fmac_f32_e32 v126, v153, v99
	v_fma_f32 v153, v47, v99, -v46
	ds_read2_b32 v[46:47], v35 offset0:40 offset1:175
	v_fmac_f32_e32 v170, v155, v101
	v_fma_f32 v155, v52, v101, -v51
	s_waitcnt vmcnt(7) lgkmcnt(3)
	v_mul_f32_e32 v121, v107, v104
	v_mul_f32_e32 v51, v156, v104
	;; [unrolled: 1-line block ×3, first 2 shown]
	s_waitcnt lgkmcnt(2)
	v_mul_f32_e32 v127, v115, v106
	s_waitcnt vmcnt(5)
	v_mul_f32_e32 v110, v108, v112
	v_mul_f32_e32 v60, v157, v112
	s_waitcnt lgkmcnt(1)
	v_mul_f32_e32 v104, v58, v129
	v_fma_f32 v122, v115, v105, -v52
	s_waitcnt vmcnt(4)
	v_mul_f32_e32 v102, v59, v133
	v_fmac_f32_e32 v110, v157, v111
	v_fma_f32 v157, v108, v111, -v60
	ds_read2_b32 v[60:61], v39 offset0:54 offset1:189
	v_fmac_f32_e32 v104, v14, v128
	v_mul_f32_e32 v14, v14, v129
	v_mul_f32_e32 v100, v15, v133
	v_fmac_f32_e32 v102, v15, v132
	v_mul_f32_e32 v99, v159, v114
	s_waitcnt lgkmcnt(1)
	v_mul_f32_e32 v115, v46, v131
	v_fma_f32 v124, v58, v128, -v14
	ds_read2_b32 v[14:15], v40 offset0:62 offset1:197
	ds_read2_b32 v[128:129], v41 offset0:68 offset1:203
	v_mul_f32_e32 v120, v116, v114
	v_fma_f32 v117, v116, v113, -v99
	v_mul_f32_e32 v99, v12, v131
	v_fmac_f32_e32 v115, v12, v130
	v_mul_f32_e32 v12, v13, v135
	v_fmac_f32_e32 v120, v159, v113
	v_fma_f32 v113, v59, v132, -v100
	v_fmac_f32_e32 v121, v156, v103
	v_fma_f32 v156, v107, v103, -v51
	v_fma_f32 v118, v47, v134, -v12
	s_waitcnt vmcnt(3) lgkmcnt(2)
	v_mul_f32_e32 v100, v60, v139
	s_waitcnt vmcnt(2)
	v_mul_f32_e32 v12, v9, v143
	ds_read2_b32 v[51:52], v37 offset0:112 offset1:247
	v_fma_f32 v114, v46, v130, -v99
	v_mul_f32_e32 v107, v61, v143
	v_fmac_f32_e32 v100, v8, v138
	v_mul_f32_e32 v8, v8, v139
	v_fma_f32 v111, v61, v142, -v12
	s_waitcnt vmcnt(0) lgkmcnt(2)
	v_mul_f32_e32 v61, v15, v149
	s_waitcnt lgkmcnt(1)
	v_mul_f32_e32 v99, v128, v147
	v_fmac_f32_e32 v107, v9, v142
	v_fma_f32 v108, v60, v138, -v8
	v_mul_f32_e32 v60, v14, v145
	v_mul_f32_e32 v8, v6, v145
	;; [unrolled: 1-line block ×3, first 2 shown]
	v_fmac_f32_e32 v99, v4, v146
	v_fmac_f32_e32 v61, v7, v148
	v_mul_f32_e32 v4, v7, v149
	v_mul_f32_e32 v109, v129, v151
	v_add_f32_e32 v7, v168, v169
	v_fmac_f32_e32 v127, v158, v105
	v_fmac_f32_e32 v60, v6, v144
	v_fma_f32 v105, v14, v144, -v8
	v_mul_f32_e32 v6, v5, v151
	v_add_f32_e32 v8, v49, v168
	v_fmac_f32_e32 v109, v5, v150
	v_fmac_f32_e32 v49, -0.5, v7
	v_sub_f32_e32 v5, v152, v154
	v_mul_f32_e32 v46, v10, v137
	v_fma_f32 v125, v15, v148, -v4
	v_fma_f32 v119, v129, v150, -v6
	v_add_f32_e32 v4, v8, v169
	v_fmamk_f32 v6, v5, 0xbf5db3d7, v49
	v_add_f32_e32 v7, v126, v170
	v_fmac_f32_e32 v49, 0x3f5db3d7, v5
	v_mul_f32_e32 v112, v47, v135
	s_waitcnt lgkmcnt(0)
	v_fma_f32 v106, v51, v136, -v46
	v_fma_f32 v101, v128, v146, -v9
	ds_read_b32 v128, v38
	ds_read_b32 v129, v98
	;; [unrolled: 1-line block ×10, first 2 shown]
	s_waitcnt lgkmcnt(0)
	s_barrier
	buffer_gl0_inv
	v_add_f32_e32 v5, v45, v126
	v_lshlrev_b32_e32 v8, 2, v54
	v_cndmask_b32_e64 v9, 0, 0x708, s0
	v_fmac_f32_e32 v45, -0.5, v7
	v_sub_f32_e32 v7, v153, v155
	ds_write2_b32 v38, v4, v6 offset1:150
	ds_write_b32 v38, v49 offset:1200
	v_add_f32_e32 v6, v121, v127
	v_fmac_f32_e32 v112, v13, v134
	v_add3_u32 v134, 0, v9, v8
	v_add_f32_e32 v4, v5, v170
	v_fmamk_f32 v5, v7, 0xbf5db3d7, v45
	v_fmac_f32_e32 v45, 0x3f5db3d7, v7
	v_add_f32_e32 v7, v44, v121
	v_mul_u32_u24_e32 v8, 0x708, v55
	v_lshlrev_b32_sdwa v9, v42, v56 dst_sel:DWORD dst_unused:UNUSED_PAD src0_sel:DWORD src1_sel:WORD_0
	v_fmac_f32_e32 v44, -0.5, v6
	v_sub_f32_e32 v6, v156, v122
	ds_write2_b32 v134, v4, v5 offset1:150
	ds_write_b32 v134, v45 offset:1200
	v_add_f32_e32 v4, v7, v127
	v_add3_u32 v45, 0, v8, v9
	v_add_f32_e32 v7, v110, v120
	v_fmamk_f32 v5, v6, 0xbf5db3d7, v44
	v_fmac_f32_e32 v44, 0x3f5db3d7, v6
	v_add_f32_e32 v6, v25, v110
	v_mul_u32_u24_e32 v8, 0x708, v22
	v_lshlrev_b32_sdwa v9, v42, v57 dst_sel:DWORD dst_unused:UNUSED_PAD src0_sel:DWORD src1_sel:WORD_0
	v_fmac_f32_e32 v25, -0.5, v7
	v_sub_f32_e32 v7, v157, v117
	ds_write2_b32 v45, v4, v5 offset1:150
	ds_write_b32 v45, v44 offset:1200
	v_add_f32_e32 v4, v6, v120
	v_add_f32_e32 v6, v104, v115
	v_mul_f32_e32 v59, v51, v137
	v_add3_u32 v44, 0, v8, v9
	v_fmamk_f32 v5, v7, 0xbf5db3d7, v25
	v_fmac_f32_e32 v25, 0x3f5db3d7, v7
	v_add_f32_e32 v7, v24, v104
	v_fmac_f32_e32 v24, -0.5, v6
	v_sub_f32_e32 v6, v124, v114
	v_mul_u32_u24_e32 v8, 0x708, v50
	v_lshlrev_b32_sdwa v9, v42, v161 dst_sel:DWORD dst_unused:UNUSED_PAD src0_sel:DWORD src1_sel:WORD_0
	v_fmac_f32_e32 v59, v10, v136
	v_mul_f32_e32 v103, v52, v141
	ds_write2_b32 v44, v4, v5 offset1:150
	ds_write_b32 v44, v25 offset:1200
	v_fmamk_f32 v5, v6, 0xbf5db3d7, v24
	v_fmac_f32_e32 v24, 0x3f5db3d7, v6
	v_add_f32_e32 v6, v102, v112
	v_add3_u32 v135, 0, v8, v9
	v_add_f32_e32 v4, v7, v115
	v_mul_u32_u24_e32 v7, 0x708, v160
	v_lshlrev_b32_sdwa v8, v42, v163 dst_sel:DWORD dst_unused:UNUSED_PAD src0_sel:DWORD src1_sel:WORD_0
	v_mul_f32_e32 v10, v11, v141
	v_fmac_f32_e32 v103, v11, v140
	v_add_f32_e32 v9, v19, v102
	v_fmac_f32_e32 v19, -0.5, v6
	v_add_f32_e32 v6, v59, v100
	v_add3_u32 v136, 0, v7, v8
	v_mul_u32_u24_e32 v7, 0x708, v162
	v_lshlrev_b32_sdwa v8, v42, v164 dst_sel:DWORD dst_unused:UNUSED_PAD src0_sel:DWORD src1_sel:WORD_0
	v_fma_f32 v116, v52, v140, -v10
	ds_write2_b32 v135, v4, v5 offset1:150
	v_add_f32_e32 v4, v9, v112
	v_sub_f32_e32 v5, v113, v118
	v_add_f32_e32 v9, v23, v59
	v_fmac_f32_e32 v23, -0.5, v6
	v_add_f32_e32 v6, v103, v107
	v_add3_u32 v137, 0, v7, v8
	v_sub_f32_e32 v7, v106, v108
	v_fmamk_f32 v10, v5, 0xbf5db3d7, v19
	v_fmac_f32_e32 v19, 0x3f5db3d7, v5
	v_add_f32_e32 v5, v9, v100
	v_add_f32_e32 v8, v18, v103
	v_mul_u32_u24_e32 v9, 0x708, v165
	v_lshlrev_b32_sdwa v11, v42, v53 dst_sel:DWORD dst_unused:UNUSED_PAD src0_sel:DWORD src1_sel:WORD_0
	v_fmac_f32_e32 v18, -0.5, v6
	v_sub_f32_e32 v6, v116, v111
	v_fmamk_f32 v12, v7, 0xbf5db3d7, v23
	v_fmac_f32_e32 v23, 0x3f5db3d7, v7
	v_add3_u32 v138, 0, v9, v11
	v_add_f32_e32 v7, v8, v107
	v_fmamk_f32 v8, v6, 0xbf5db3d7, v18
	ds_write_b32 v135, v24 offset:1200
	ds_write2_b32 v136, v4, v10 offset1:150
	ds_write_b32 v136, v19 offset:1200
	ds_write2_b32 v137, v5, v12 offset1:150
	;; [unrolled: 2-line block ×3, first 2 shown]
	v_add_f32_e32 v4, v60, v99
	v_fmac_f32_e32 v18, 0x3f5db3d7, v6
	v_mul_u32_u24_e32 v6, 0x708, v48
	v_lshlrev_b32_sdwa v7, v42, v166 dst_sel:DWORD dst_unused:UNUSED_PAD src0_sel:DWORD src1_sel:WORD_0
	v_add_f32_e32 v5, v17, v60
	v_fmac_f32_e32 v17, -0.5, v4
	v_sub_f32_e32 v4, v105, v101
	v_add_f32_e32 v8, v61, v109
	v_add3_u32 v139, 0, v6, v7
	v_add_f32_e32 v7, v16, v61
	v_add_f32_e32 v5, v5, v99
	v_fmamk_f32 v6, v4, 0xbf5db3d7, v17
	v_fmac_f32_e32 v17, 0x3f5db3d7, v4
	ds_write_b32 v138, v18 offset:1200
	v_add_f32_e32 v4, v7, v109
	v_add_f32_e32 v7, v152, v154
	v_fmac_f32_e32 v16, -0.5, v8
	v_sub_f32_e32 v8, v125, v119
	v_lshl_add_u32 v140, v167, 2, 0
	ds_write2_b32 v139, v5, v6 offset1:150
	v_add_f32_e32 v6, v128, v152
	v_fmac_f32_e32 v128, -0.5, v7
	v_sub_f32_e32 v143, v168, v169
	v_add_f32_e32 v144, v153, v155
	v_fmamk_f32 v5, v8, 0xbf5db3d7, v16
	v_add_nc_u32_e32 v141, 0x3800, v140
	v_fmac_f32_e32 v16, 0x3f5db3d7, v8
	v_fmamk_f32 v145, v143, 0x3f5db3d7, v128
	v_add_f32_e32 v146, v129, v153
	v_fmac_f32_e32 v128, 0xbf5db3d7, v143
	v_fmac_f32_e32 v129, -0.5, v144
	v_sub_f32_e32 v126, v126, v170
	v_add_f32_e32 v143, v156, v122
	ds_write_b32 v139, v17 offset:1200
	ds_write2_b32 v141, v4, v5 offset0:16 offset1:166
	v_add_f32_e32 v142, v6, v154
	ds_write_b32 v140, v16 offset:15600
	s_waitcnt lgkmcnt(0)
	s_barrier
	buffer_gl0_inv
	ds_read_b32 v57, v38
	ds_read_b32 v56, v98
	;; [unrolled: 1-line block ×10, first 2 shown]
	ds_read2_b32 v[24:25], v26 offset0:70 offset1:205
	ds_read2_b32 v[22:23], v27 offset0:12 offset1:147
	;; [unrolled: 1-line block ×10, first 2 shown]
	s_waitcnt lgkmcnt(0)
	s_barrier
	buffer_gl0_inv
	ds_write_b32 v38, v128 offset:1200
	v_fmamk_f32 v128, v126, 0x3f5db3d7, v129
	v_fmac_f32_e32 v129, 0xbf5db3d7, v126
	v_add_f32_e32 v126, v130, v156
	v_fmac_f32_e32 v130, -0.5, v143
	v_sub_f32_e32 v121, v121, v127
	v_add_f32_e32 v127, v157, v117
	ds_write2_b32 v38, v142, v145 offset1:150
	v_add_f32_e32 v142, v146, v155
	v_add_f32_e32 v122, v126, v122
	v_fmamk_f32 v126, v121, 0x3f5db3d7, v130
	v_fmac_f32_e32 v130, 0xbf5db3d7, v121
	v_add_f32_e32 v121, v132, v157
	v_fmac_f32_e32 v132, -0.5, v127
	v_sub_f32_e32 v110, v110, v120
	ds_write2_b32 v134, v142, v128 offset1:150
	ds_write_b32 v134, v129 offset:1200
	ds_write2_b32 v45, v122, v126 offset1:150
	ds_write_b32 v45, v130 offset:1200
	v_add_f32_e32 v45, v121, v117
	v_fmamk_f32 v117, v110, 0x3f5db3d7, v132
	v_add_f32_e32 v120, v124, v114
	v_fmac_f32_e32 v132, 0xbf5db3d7, v110
	v_add_f32_e32 v121, v131, v124
	v_sub_f32_e32 v104, v104, v115
	ds_write2_b32 v44, v45, v117 offset1:150
	v_add_f32_e32 v45, v113, v118
	v_fmac_f32_e32 v131, -0.5, v120
	ds_write_b32 v44, v132 offset:1200
	v_add_f32_e32 v44, v123, v113
	v_add_f32_e32 v110, v121, v114
	v_fmac_f32_e32 v123, -0.5, v45
	v_sub_f32_e32 v45, v102, v112
	v_fmamk_f32 v114, v104, 0x3f5db3d7, v131
	v_fmac_f32_e32 v131, 0xbf5db3d7, v104
	v_add_f32_e32 v102, v106, v108
	v_add_f32_e32 v106, v133, v106
	v_fmamk_f32 v104, v45, 0x3f5db3d7, v123
	v_fmac_f32_e32 v123, 0xbf5db3d7, v45
	v_add_f32_e32 v45, v116, v111
	v_fmac_f32_e32 v133, -0.5, v102
	v_sub_f32_e32 v59, v59, v100
	v_add_f32_e32 v100, v58, v116
	v_add_f32_e32 v102, v106, v108
	v_fmac_f32_e32 v58, -0.5, v45
	v_sub_f32_e32 v45, v103, v107
	v_fmamk_f32 v103, v59, 0x3f5db3d7, v133
	v_fmac_f32_e32 v133, 0xbf5db3d7, v59
	v_add_f32_e32 v59, v100, v111
	v_add_f32_e32 v100, v105, v101
	v_fmamk_f32 v106, v45, 0x3f5db3d7, v58
	v_fmac_f32_e32 v58, 0xbf5db3d7, v45
	v_add_f32_e32 v45, v125, v119
	v_add_f32_e32 v105, v47, v105
	v_fmac_f32_e32 v47, -0.5, v100
	v_sub_f32_e32 v60, v60, v99
	v_add_f32_e32 v99, v46, v125
	v_fmac_f32_e32 v46, -0.5, v45
	v_sub_f32_e32 v45, v61, v109
	v_add_f32_e32 v44, v44, v118
	ds_write2_b32 v135, v110, v114 offset1:150
	v_fmamk_f32 v100, v60, 0x3f5db3d7, v47
	v_fmac_f32_e32 v47, 0xbf5db3d7, v60
	v_add_f32_e32 v60, v99, v119
	v_fmamk_f32 v99, v45, 0x3f5db3d7, v46
	v_fmac_f32_e32 v46, 0xbf5db3d7, v45
	ds_write_b32 v135, v131 offset:1200
	ds_write2_b32 v136, v44, v104 offset1:150
	ds_write_b32 v136, v123 offset:1200
	ds_write2_b32 v137, v102, v103 offset1:150
	;; [unrolled: 2-line block ×3, first 2 shown]
	v_lshlrev_b32_e32 v44, 1, v85
	v_mov_b32_e32 v45, v1
	v_add_f32_e32 v61, v105, v101
	v_add_co_u32 v59, s0, 0x800, v2
	ds_write_b32 v138, v58 offset:1200
	ds_write2_b32 v139, v61, v100 offset1:150
	ds_write_b32 v139, v47 offset:1200
	ds_write2_b32 v141, v60, v99 offset0:16 offset1:166
	v_lshlrev_b64 v[44:45], 3, v[44:45]
	v_add_co_ci_u32_e64 v60, s0, 0, v3, s0
	v_subrev_nc_u32_e32 v58, 45, v80
	ds_write_b32 v140, v46 offset:15600
	v_lshlrev_b32_e32 v46, 1, v84
	v_add_co_u32 v44, s0, s8, v44
	v_add_co_ci_u32_e64 v45, s0, s9, v45, s0
	v_mov_b32_e32 v47, v1
	v_add_co_u32 v103, s0, 0x800, v44
	v_add_co_ci_u32_e64 v104, s0, 0, v45, s0
	v_cmp_gt_u32_e64 s0, 45, v80
	v_lshlrev_b64 v[46:47], 3, v[46:47]
	v_mov_b32_e32 v100, v1
	s_waitcnt lgkmcnt(0)
	s_barrier
	v_cndmask_b32_e64 v58, v58, v86, s0
	buffer_gl0_inv
	v_add_co_u32 v46, s0, s8, v46
	v_add_co_ci_u32_e64 v47, s0, s9, v47, s0
	v_lshlrev_b32_e32 v99, 1, v58
	v_add_co_u32 v107, s0, 0x800, v46
	v_add_co_ci_u32_e64 v108, s0, 0, v47, s0
	v_lshlrev_b64 v[109:110], 3, v[99:100]
	s_clause 0x1
	global_load_dwordx4 v[99:102], v[59:60], off offset:1472
	global_load_dwordx4 v[103:106], v[103:104], off offset:1472
	v_add_nc_u32_e32 v59, 0xb4, v0
	v_mov_b32_e32 v60, v1
	v_mov_b32_e32 v123, 0x91a3
	v_add_nc_u32_e32 v0, 0x1c2, v0
	v_add_co_u32 v61, s0, s8, v109
	v_add_co_ci_u32_e64 v109, s0, s9, v110, s0
	v_lshlrev_b64 v[59:60], 3, v[59:60]
	v_add_co_u32 v111, s0, 0x800, v61
	v_mul_u32_u24_sdwa v61, v89, v123 dst_sel:DWORD dst_unused:UNUSED_PAD src0_sel:WORD_0 src1_sel:DWORD
	v_add_co_ci_u32_e64 v112, s0, 0, v109, s0
	v_add_co_u32 v109, s0, s8, v59
	v_add_co_ci_u32_e64 v110, s0, s9, v60, s0
	v_lshlrev_b64 v[59:60], 3, v[0:1]
	v_lshrrev_b32_e32 v0, 24, v61
	v_mul_u32_u24_sdwa v113, v90, v123 dst_sel:DWORD dst_unused:UNUSED_PAD src0_sel:WORD_0 src1_sel:DWORD
	v_add_co_u32 v115, s0, 0x800, v109
	v_add_co_ci_u32_e64 v116, s0, 0, v110, s0
	v_mul_lo_u16 v109, 0x1c2, v0
	v_lshrrev_b32_e32 v61, 24, v113
	v_add_co_u32 v110, s0, s8, v59
	v_add_co_ci_u32_e64 v113, s0, s9, v60, s0
	v_sub_nc_u16 v59, v89, v109
	v_mul_lo_u16 v114, 0x1c2, v61
	v_add_co_u32 v60, s0, 0x800, v110
	v_add_co_ci_u32_e64 v61, s0, 0, v113, s0
	v_mul_u32_u24_sdwa v125, v91, v123 dst_sel:DWORD dst_unused:UNUSED_PAD src0_sel:WORD_0 src1_sel:DWORD
	v_lshlrev_b32_sdwa v43, v43, v59 dst_sel:DWORD dst_unused:UNUSED_PAD src0_sel:DWORD src1_sel:WORD_0
	v_sub_nc_u16 v124, v90, v114
	s_clause 0x3
	global_load_dwordx4 v[107:110], v[107:108], off offset:1472
	global_load_dwordx4 v[111:114], v[111:112], off offset:1472
	global_load_dwordx4 v[115:118], v[115:116], off offset:1472
	global_load_dwordx4 v[119:122], v[60:61], off offset:1472
	v_mul_u32_u24_sdwa v61, v92, v123 dst_sel:DWORD dst_unused:UNUSED_PAD src0_sel:WORD_0 src1_sel:DWORD
	v_lshrrev_b32_e32 v60, 24, v125
	v_add_co_u32 v43, s0, s8, v43
	v_and_b32_e32 v147, 0xffff, v124
	v_add_co_ci_u32_e64 v123, null, s9, 0, s0
	v_lshrrev_b32_e32 v126, 24, v61
	v_mul_lo_u16 v125, 0x1c2, v60
	v_add_co_u32 v60, s0, 0x800, v43
	v_lshlrev_b32_e32 v124, 4, v147
	v_add_co_ci_u32_e64 v61, s0, 0, v123, s0
	v_mul_lo_u16 v123, 0x1c2, v126
	v_sub_nc_u16 v43, v91, v125
	v_add_co_u32 v124, s0, s8, v124
	v_add_co_ci_u32_e64 v125, null, s9, 0, s0
	v_sub_nc_u16 v123, v92, v123
	v_and_b32_e32 v43, 0xffff, v43
	v_add_co_u32 v127, s0, 0x800, v124
	v_add_co_ci_u32_e64 v128, s0, 0, v125, s0
	v_and_b32_e32 v148, 0xffff, v123
	v_lshlrev_b32_e32 v131, 4, v43
	s_clause 0x1
	global_load_dwordx4 v[123:126], v[60:61], off offset:1472
	global_load_dwordx4 v[127:130], v[127:128], off offset:1472
	v_mul_u32_u24_e32 v0, 0x1518, v0
	v_lshlrev_b32_e32 v60, 4, v148
	v_add_co_u32 v61, s0, s8, v131
	v_add_co_ci_u32_e64 v131, null, s9, 0, s0
	v_add_co_u32 v132, s0, s8, v60
	v_add_co_ci_u32_e64 v133, null, s9, 0, s0
	v_add_co_u32 v60, s0, 0x800, v61
	v_add_co_ci_u32_e64 v61, s0, 0, v131, s0
	v_add_co_u32 v135, s0, 0x800, v132
	v_add_co_ci_u32_e64 v136, s0, 0, v133, s0
	s_clause 0x1
	global_load_dwordx4 v[131:134], v[60:61], off offset:1472
	global_load_dwordx4 v[135:138], v[135:136], off offset:1472
	ds_read2_b32 v[60:61], v26 offset0:70 offset1:205
	ds_read2_b32 v[139:140], v27 offset0:12 offset1:147
	;; [unrolled: 1-line block ×5, first 2 shown]
	v_cmp_lt_u32_e64 s0, 44, v80
	s_waitcnt vmcnt(9) lgkmcnt(3)
	v_mul_f32_e32 v150, v139, v102
	v_mul_f32_e32 v149, v60, v100
	;; [unrolled: 1-line block ×3, first 2 shown]
	s_waitcnt vmcnt(8)
	v_mul_f32_e32 v153, v140, v106
	v_mul_f32_e32 v100, v24, v100
	v_fmac_f32_e32 v150, v22, v101
	v_mul_f32_e32 v22, v25, v104
	v_fmac_f32_e32 v149, v24, v99
	;; [unrolled: 2-line block ×3, first 2 shown]
	v_mul_f32_e32 v152, v61, v104
	v_fma_f32 v106, v61, v103, -v22
	ds_read2_b32 v[22:23], v35 offset0:40 offset1:175
	v_fma_f32 v105, v140, v105, -v24
	v_fma_f32 v151, v60, v99, -v100
	v_fmac_f32_e32 v152, v25, v103
	v_fma_f32 v139, v139, v101, -v102
	s_waitcnt vmcnt(7) lgkmcnt(3)
	v_mul_f32_e32 v140, v141, v108
	v_mul_f32_e32 v24, v18, v108
	s_waitcnt lgkmcnt(2)
	v_mul_f32_e32 v108, v143, v110
	v_mul_f32_e32 v25, v16, v110
	s_waitcnt vmcnt(6)
	v_mul_f32_e32 v110, v142, v112
	s_waitcnt vmcnt(5) lgkmcnt(1)
	v_mul_f32_e32 v60, v145, v116
	v_fmac_f32_e32 v140, v18, v107
	v_fmac_f32_e32 v108, v16, v109
	v_mul_f32_e32 v16, v19, v112
	v_mul_f32_e32 v112, v144, v114
	v_fma_f32 v107, v141, v107, -v24
	v_fma_f32 v109, v143, v109, -v25
	v_fmac_f32_e32 v110, v19, v111
	v_mul_f32_e32 v61, v17, v114
	v_fma_f32 v111, v142, v111, -v16
	ds_read2_b32 v[24:25], v39 offset0:54 offset1:189
	v_fmac_f32_e32 v112, v17, v113
	v_fmac_f32_e32 v60, v14, v115
	v_mul_f32_e32 v14, v14, v116
	v_mul_f32_e32 v16, v12, v118
	s_waitcnt vmcnt(4)
	v_mul_f32_e32 v17, v15, v120
	ds_read2_b32 v[18:19], v37 offset0:112 offset1:247
	v_mul_f32_e32 v100, v146, v120
	v_fma_f32 v114, v145, v115, -v14
	s_waitcnt lgkmcnt(2)
	v_fma_f32 v115, v22, v117, -v16
	v_fma_f32 v116, v146, v119, -v17
	ds_read2_b32 v[16:17], v41 offset0:68 offset1:203
	v_fmac_f32_e32 v100, v15, v119
	ds_read2_b32 v[14:15], v40 offset0:62 offset1:197
	v_mul_f32_e32 v101, v22, v118
	v_fma_f32 v113, v144, v113, -v61
	s_waitcnt vmcnt(3)
	v_mul_f32_e32 v22, v10, v124
	v_lshl_add_u32 v144, v43, 2, 0
	v_lshl_add_u32 v145, v148, 2, 0
	v_fmac_f32_e32 v101, v12, v117
	v_mul_f32_e32 v117, v23, v122
	v_mul_f32_e32 v12, v13, v122
	s_waitcnt lgkmcnt(3)
	v_mul_f32_e32 v103, v24, v126
	v_fmac_f32_e32 v117, v13, v121
	s_waitcnt lgkmcnt(2)
	v_mul_f32_e32 v61, v18, v124
	v_fma_f32 v118, v23, v121, -v12
	v_fmac_f32_e32 v103, v8, v125
	v_mul_f32_e32 v8, v8, v126
	s_waitcnt vmcnt(2)
	v_mul_f32_e32 v121, v25, v130
	v_fmac_f32_e32 v61, v10, v123
	v_mul_f32_e32 v120, v19, v128
	v_mul_f32_e32 v10, v11, v128
	;; [unrolled: 1-line block ×3, first 2 shown]
	v_fma_f32 v122, v24, v125, -v8
	v_fmac_f32_e32 v121, v9, v129
	s_waitcnt vmcnt(1) lgkmcnt(1)
	v_mul_f32_e32 v102, v16, v134
	s_waitcnt lgkmcnt(0)
	v_mul_f32_e32 v99, v14, v132
	v_mul_f32_e32 v8, v6, v132
	v_mul_f32_e32 v9, v4, v134
	s_waitcnt vmcnt(0)
	v_mul_f32_e32 v104, v15, v136
	v_fmac_f32_e32 v102, v4, v133
	v_add_f32_e32 v4, v149, v150
	v_fma_f32 v119, v18, v123, -v22
	v_fmac_f32_e32 v120, v11, v127
	v_fma_f32 v123, v19, v127, -v10
	v_mul_f32_e32 v127, v17, v138
	v_fmac_f32_e32 v99, v6, v131
	v_fma_f32 v125, v14, v131, -v8
	v_fmac_f32_e32 v104, v7, v135
	v_mul_f32_e32 v6, v7, v136
	v_mul_f32_e32 v7, v5, v138
	v_add_f32_e32 v8, v57, v149
	v_fmac_f32_e32 v57, -0.5, v4
	v_sub_f32_e32 v4, v151, v139
	v_fmac_f32_e32 v127, v5, v137
	v_add_f32_e32 v5, v152, v153
	v_fma_f32 v124, v25, v129, -v12
	v_fma_f32 v128, v15, v135, -v6
	;; [unrolled: 1-line block ×3, first 2 shown]
	v_fmamk_f32 v6, v4, 0xbf5db3d7, v57
	v_fmac_f32_e32 v57, 0x3f5db3d7, v4
	v_add_f32_e32 v4, v56, v152
	v_add_f32_e32 v7, v140, v108
	;; [unrolled: 1-line block ×3, first 2 shown]
	v_fma_f32 v126, v16, v133, -v9
	v_fmac_f32_e32 v56, -0.5, v5
	v_sub_f32_e32 v5, v106, v105
	v_add_f32_e32 v9, v110, v112
	v_add_f32_e32 v10, v55, v140
	v_fmac_f32_e32 v55, -0.5, v7
	v_sub_f32_e32 v7, v107, v109
	v_add_f32_e32 v4, v4, v153
	v_add_f32_e32 v11, v54, v110
	ds_read_b32 v130, v38
	ds_read_b32 v131, v98
	;; [unrolled: 1-line block ×10, first 2 shown]
	s_waitcnt lgkmcnt(0)
	s_barrier
	buffer_gl0_inv
	ds_write_b32 v38, v8
	ds_write_b32 v38, v6 offset:1800
	v_lshlrev_b32_e32 v6, 2, v58
	v_cndmask_b32_e64 v8, 0, 0x1518, s0
	v_fmac_f32_e32 v54, -0.5, v9
	v_sub_f32_e32 v9, v111, v113
	v_fmamk_f32 v12, v5, 0xbf5db3d7, v56
	v_fmac_f32_e32 v56, 0x3f5db3d7, v5
	ds_write_b32 v38, v57 offset:3600
	ds_write_b32 v98, v4
	v_add_f32_e32 v4, v10, v108
	v_fmamk_f32 v5, v7, 0xbf5db3d7, v55
	v_fmac_f32_e32 v55, 0x3f5db3d7, v7
	v_add3_u32 v57, 0, v8, v6
	v_add_f32_e32 v6, v11, v112
	v_fmamk_f32 v7, v9, 0xbf5db3d7, v54
	ds_write_b32 v98, v12 offset:1800
	ds_write_b32 v98, v56 offset:3600
	ds_write_b32 v97, v4
	ds_write_b32 v97, v5 offset:1800
	ds_write_b32 v97, v55 offset:3600
	ds_write_b32 v57, v6
	ds_write_b32 v57, v7 offset:1800
	v_add_f32_e32 v4, v60, v101
	v_add_f32_e32 v6, v53, v60
	;; [unrolled: 1-line block ×3, first 2 shown]
	v_lshl_add_u32 v8, v80, 2, 0
	v_fmac_f32_e32 v54, 0x3f5db3d7, v9
	v_fmac_f32_e32 v53, -0.5, v4
	v_sub_f32_e32 v4, v114, v115
	v_add_f32_e32 v5, v100, v117
	v_add_f32_e32 v6, v6, v101
	;; [unrolled: 1-line block ×3, first 2 shown]
	v_add_nc_u32_e32 v56, 0x1600, v8
	v_fmamk_f32 v9, v4, 0xbf5db3d7, v53
	v_fmac_f32_e32 v53, 0x3f5db3d7, v4
	v_add_f32_e32 v4, v151, v139
	v_fmac_f32_e32 v52, -0.5, v5
	v_sub_f32_e32 v5, v116, v118
	ds_write_b32 v57, v54 offset:3600
	ds_write2_b32 v56, v6, v7 offset0:32 offset1:167
	v_add_f32_e32 v6, v130, v151
	v_fmac_f32_e32 v130, -0.5, v4
	v_sub_f32_e32 v4, v149, v150
	v_fmamk_f32 v10, v5, 0xbf5db3d7, v52
	v_add_nc_u32_e32 v58, 0x1c00, v8
	v_fmac_f32_e32 v52, 0x3f5db3d7, v5
	v_add_f32_e32 v5, v106, v105
	v_add_f32_e32 v7, v131, v106
	;; [unrolled: 1-line block ×3, first 2 shown]
	v_fmamk_f32 v139, v4, 0x3f5db3d7, v130
	v_fmac_f32_e32 v130, 0xbf5db3d7, v4
	v_add_f32_e32 v4, v61, v103
	v_add_f32_e32 v6, v120, v121
	v_add_nc_u32_e32 v142, 0x2400, v8
	ds_write2_b32 v58, v9, v10 offset0:98 offset1:233
	ds_write2_b32 v142, v53, v52 offset0:36 offset1:171
	v_fmac_f32_e32 v131, -0.5, v5
	v_sub_f32_e32 v5, v152, v153
	v_add_f32_e32 v105, v7, v105
	v_add_f32_e32 v7, v51, v61
	v_fmac_f32_e32 v51, -0.5, v4
	v_sub_f32_e32 v4, v119, v122
	v_add_f32_e32 v8, v50, v120
	v_fmac_f32_e32 v50, -0.5, v6
	v_sub_f32_e32 v6, v123, v124
	v_add_f32_e32 v9, v99, v102
	v_lshlrev_b32_sdwa v12, v42, v59 dst_sel:DWORD dst_unused:UNUSED_PAD src0_sel:DWORD src1_sel:WORD_0
	v_fmamk_f32 v143, v5, 0x3f5db3d7, v131
	v_fmac_f32_e32 v131, 0xbf5db3d7, v5
	v_fmamk_f32 v5, v4, 0xbf5db3d7, v51
	v_fmac_f32_e32 v51, 0x3f5db3d7, v4
	;; [unrolled: 2-line block ×3, first 2 shown]
	v_add_f32_e32 v6, v48, v99
	v_fmac_f32_e32 v48, -0.5, v9
	v_add_f32_e32 v9, v104, v127
	v_add3_u32 v0, 0, v0, v12
	v_add_f32_e32 v7, v7, v103
	v_sub_f32_e32 v10, v125, v126
	v_add_f32_e32 v11, v49, v104
	v_fmac_f32_e32 v49, -0.5, v9
	v_sub_f32_e32 v9, v128, v129
	v_add_f32_e32 v8, v8, v121
	v_lshl_add_u32 v59, v147, 2, 0
	ds_write_b32 v0, v7
	ds_write_b32 v0, v5 offset:1800
	ds_write_b32 v0, v51 offset:3600
	;; [unrolled: 1-line block ×3, first 2 shown]
	v_add_f32_e32 v5, v6, v102
	v_fmamk_f32 v13, v10, 0xbf5db3d7, v48
	v_fmac_f32_e32 v48, 0x3f5db3d7, v10
	v_fmamk_f32 v10, v9, 0xbf5db3d7, v49
	v_fmac_f32_e32 v49, 0x3f5db3d7, v9
	ds_write_b32 v59, v4 offset:12600
	v_add_f32_e32 v4, v11, v127
	ds_write_b32 v59, v50 offset:14400
	ds_write_b32 v144, v5 offset:10800
	;; [unrolled: 1-line block ×7, first 2 shown]
	s_waitcnt lgkmcnt(0)
	s_barrier
	buffer_gl0_inv
	ds_read_b32 v53, v38
	ds_read_b32 v54, v98
	ds_read_b32 v55, v97
	ds_read_b32 v48, v96
	ds_read_b32 v50, v31
	ds_read_b32 v51, v32
	ds_read_b32 v52, v33
	ds_read_b32 v43, v95
	ds_read_b32 v42, v94
	ds_read_b32 v49, v93
	ds_read2_b32 v[22:23], v26 offset0:70 offset1:205
	ds_read2_b32 v[24:25], v27 offset0:12 offset1:147
	;; [unrolled: 1-line block ×10, first 2 shown]
	s_waitcnt lgkmcnt(0)
	s_barrier
	buffer_gl0_inv
	ds_write_b32 v38, v106
	v_add_f32_e32 v106, v107, v109
	ds_write_b32 v38, v139 offset:1800
	ds_write_b32 v38, v130 offset:3600
	ds_write_b32 v98, v105
	v_add_f32_e32 v105, v132, v107
	ds_write_b32 v98, v143 offset:1800
	ds_write_b32 v98, v131 offset:3600
	v_add_f32_e32 v98, v111, v113
	v_fmac_f32_e32 v132, -0.5, v106
	v_sub_f32_e32 v106, v140, v108
	v_add_f32_e32 v105, v105, v109
	v_sub_f32_e32 v60, v60, v101
	v_fmamk_f32 v107, v106, 0x3f5db3d7, v132
	v_fmac_f32_e32 v132, 0xbf5db3d7, v106
	v_add_f32_e32 v106, v138, v111
	v_fmac_f32_e32 v138, -0.5, v98
	v_sub_f32_e32 v98, v110, v112
	ds_write_b32 v97, v105
	ds_write_b32 v97, v107 offset:1800
	ds_write_b32 v97, v132 offset:3600
	v_add_f32_e32 v105, v106, v113
	v_add_f32_e32 v106, v114, v115
	v_fmamk_f32 v97, v98, 0x3f5db3d7, v138
	v_fmac_f32_e32 v138, 0xbf5db3d7, v98
	v_add_f32_e32 v98, v137, v114
	ds_write_b32 v57, v105
	v_add_f32_e32 v105, v133, v116
	ds_write_b32 v57, v97 offset:1800
	v_fmac_f32_e32 v137, -0.5, v106
	v_add_f32_e32 v97, v98, v115
	v_add_f32_e32 v98, v116, v118
	;; [unrolled: 1-line block ×3, first 2 shown]
	ds_write_b32 v57, v138 offset:3600
	v_sub_f32_e32 v57, v100, v117
	v_fmac_f32_e32 v133, -0.5, v98
	ds_write2_b32 v56, v97, v105 offset0:32 offset1:167
	v_fmamk_f32 v56, v60, 0x3f5db3d7, v137
	v_fmac_f32_e32 v137, 0xbf5db3d7, v60
	v_add_f32_e32 v60, v119, v122
	v_fmamk_f32 v97, v57, 0x3f5db3d7, v133
	v_fmac_f32_e32 v133, 0xbf5db3d7, v57
	v_add_f32_e32 v57, v123, v124
	v_add_f32_e32 v98, v141, v119
	v_fmac_f32_e32 v141, -0.5, v60
	v_sub_f32_e32 v60, v61, v103
	v_add_f32_e32 v61, v134, v123
	v_fmac_f32_e32 v134, -0.5, v57
	v_sub_f32_e32 v57, v120, v121
	v_add_f32_e32 v103, v135, v125
	v_fmamk_f32 v100, v60, 0x3f5db3d7, v141
	v_fmac_f32_e32 v141, 0xbf5db3d7, v60
	v_add_f32_e32 v60, v61, v124
	v_add_f32_e32 v61, v125, v126
	v_fmamk_f32 v101, v57, 0x3f5db3d7, v134
	v_fmac_f32_e32 v134, 0xbf5db3d7, v57
	v_add_f32_e32 v57, v128, v129
	v_add_f32_e32 v98, v98, v122
	v_fmac_f32_e32 v135, -0.5, v61
	v_sub_f32_e32 v61, v99, v102
	v_add_f32_e32 v99, v136, v128
	v_fmac_f32_e32 v136, -0.5, v57
	v_sub_f32_e32 v57, v104, v127
	v_add_f32_e32 v102, v103, v126
	v_fmamk_f32 v103, v61, 0x3f5db3d7, v135
	v_fmac_f32_e32 v135, 0xbf5db3d7, v61
	v_add_f32_e32 v61, v99, v129
	v_fmamk_f32 v99, v57, 0x3f5db3d7, v136
	v_fmac_f32_e32 v136, 0xbf5db3d7, v57
	ds_write2_b32 v58, v56, v97 offset0:98 offset1:233
	ds_write2_b32 v142, v137, v133 offset0:36 offset1:171
	ds_write_b32 v0, v98
	ds_write_b32 v0, v100 offset:1800
	ds_write_b32 v0, v141 offset:3600
	;; [unrolled: 1-line block ×11, first 2 shown]
	s_waitcnt lgkmcnt(0)
	s_barrier
	buffer_gl0_inv
	s_and_saveexec_b32 s0, vcc_lo
	s_cbranch_execz .LBB0_15
; %bb.14:
	v_add_co_u32 v46, vcc_lo, 0x2800, v46
	v_add_co_ci_u32_e32 v47, vcc_lo, 0, v47, vcc_lo
	v_add_co_u32 v44, vcc_lo, 0x2800, v44
	v_add_co_ci_u32_e32 v45, vcc_lo, 0, v45, vcc_lo
	v_add_co_u32 v2, vcc_lo, 0x2800, v2
	v_lshlrev_b32_e32 v0, 1, v92
	v_add_co_ci_u32_e32 v3, vcc_lo, 0, v3, vcc_lo
	s_clause 0x2
	global_load_dwordx4 v[56:59], v[46:47], off offset:480
	global_load_dwordx4 v[44:47], v[44:45], off offset:480
	;; [unrolled: 1-line block ×3, first 2 shown]
	v_lshlrev_b64 v[2:3], 3, v[0:1]
	v_mul_i32_i24_e32 v133, 0xffffffdc, v84
	v_mad_u64_u32 v[125:126], null, s2, v83, 0
	v_mad_u64_u32 v[127:128], null, s2, v79, 0
	v_add_co_u32 v0, vcc_lo, s8, v2
	v_add_co_ci_u32_e32 v3, vcc_lo, s9, v3, vcc_lo
	v_add_nc_u32_e32 v141, v36, v133
	v_add_co_u32 v2, vcc_lo, 0x2800, v0
	v_add_co_ci_u32_e32 v3, vcc_lo, 0, v3, vcc_lo
	v_lshlrev_b32_e32 v0, 1, v91
	v_mov_b32_e32 v36, v128
	v_mad_u64_u32 v[129:130], null, s2, v81, 0
	global_load_dwordx4 v[101:104], v[2:3], off offset:480
	v_lshlrev_b64 v[2:3], 3, v[0:1]
	v_lshlrev_b32_e32 v0, 1, v90
	v_mad_u64_u32 v[131:132], null, s2, v78, 0
	v_add_co_u32 v2, vcc_lo, s8, v2
	v_add_co_ci_u32_e32 v3, vcc_lo, s9, v3, vcc_lo
	v_lshlrev_b64 v[60:61], 3, v[0:1]
	v_add_co_u32 v2, vcc_lo, 0x2800, v2
	v_add_co_ci_u32_e32 v3, vcc_lo, 0, v3, vcc_lo
	v_lshlrev_b32_e32 v0, 1, v89
	global_load_dwordx4 v[105:108], v[2:3], off offset:480
	v_add_co_u32 v2, vcc_lo, s8, v60
	v_add_co_ci_u32_e32 v3, vcc_lo, s9, v61, vcc_lo
	v_lshlrev_b64 v[60:61], 3, v[0:1]
	v_add_co_u32 v2, vcc_lo, 0x2800, v2
	v_add_co_ci_u32_e32 v3, vcc_lo, 0, v3, vcc_lo
	v_add_co_u32 v0, vcc_lo, s8, v60
	global_load_dwordx4 v[89:92], v[2:3], off offset:480
	v_add_co_ci_u32_e32 v3, vcc_lo, s9, v61, vcc_lo
	v_add_co_u32 v2, vcc_lo, 0x2800, v0
	v_lshlrev_b32_e32 v0, 1, v88
	v_add_co_ci_u32_e32 v3, vcc_lo, 0, v3, vcc_lo
	v_mul_i32_i24_e32 v88, 0xffffffdc, v85
	global_load_dwordx4 v[109:112], v[2:3], off offset:480
	v_lshlrev_b64 v[2:3], 3, v[0:1]
	v_add_nc_u32_e32 v88, v34, v88
	v_add_co_u32 v0, vcc_lo, s8, v2
	v_add_co_ci_u32_e32 v3, vcc_lo, s9, v3, vcc_lo
	v_add_co_u32 v2, vcc_lo, 0x2800, v0
	v_add_co_ci_u32_e32 v3, vcc_lo, 0, v3, vcc_lo
	v_lshlrev_b32_e32 v0, 1, v87
	global_load_dwordx4 v[113:116], v[2:3], off offset:480
	v_lshlrev_b64 v[2:3], 3, v[0:1]
	v_add_co_u32 v0, vcc_lo, s8, v2
	v_add_co_ci_u32_e32 v3, vcc_lo, s9, v3, vcc_lo
	v_add_co_u32 v2, vcc_lo, 0x2800, v0
	v_lshlrev_b32_e32 v0, 1, v86
	v_add_co_ci_u32_e32 v3, vcc_lo, 0, v3, vcc_lo
	v_lshlrev_b64 v[0:1], 3, v[0:1]
	global_load_dwordx4 v[117:120], v[2:3], off offset:480
	v_add_co_u32 v0, vcc_lo, s8, v0
	v_add_co_ci_u32_e32 v1, vcc_lo, s9, v1, vcc_lo
	v_add_co_u32 v0, vcc_lo, 0x2800, v0
	v_add_co_ci_u32_e32 v1, vcc_lo, 0, v1, vcc_lo
	global_load_dwordx4 v[121:124], v[0:1], off offset:480
	ds_read2_b32 v[0:1], v40 offset0:62 offset1:197
	ds_read2_b32 v[2:3], v41 offset0:68 offset1:203
	;; [unrolled: 1-line block ×6, first 2 shown]
	ds_read_b32 v135, v33
	ds_read_b32 v136, v32
	ds_read_b32 v137, v31
	ds_read_b32 v96, v96
	ds_read_b32 v138, v95
	ds_read_b32 v139, v94
	ds_read2_b32 v[30:31], v28 offset0:84 offset1:219
	ds_read2_b32 v[28:29], v29 offset0:26 offset1:161
	;; [unrolled: 1-line block ×4, first 2 shown]
	ds_read_b32 v140, v93
	ds_read_b32 v93, v38
	v_mad_u64_u32 v[37:38], null, s2, v80, 0
	v_add_co_u32 v26, vcc_lo, s12, v20
	v_mov_b32_e32 v35, v126
	v_add_co_ci_u32_e32 v27, vcc_lo, s13, v21, vcc_lo
	v_mad_u64_u32 v[20:21], null, s2, v82, 0
	v_mov_b32_e32 v34, v38
	v_mad_u64_u32 v[38:39], null, s3, v80, v[34:35]
	v_mad_u64_u32 v[34:35], null, s3, v83, v[35:36]
	;; [unrolled: 1-line block ×4, first 2 shown]
	ds_read_b32 v82, v141
	ds_read_b32 v83, v88
	v_mov_b32_e32 v36, v130
	v_mov_b32_e32 v126, v34
	;; [unrolled: 1-line block ×4, first 2 shown]
	v_lshlrev_b64 v[34:35], 3, v[37:38]
	v_mad_u64_u32 v[36:37], null, s3, v81, v[36:37]
	v_lshlrev_b64 v[37:38], 3, v[125:126]
	v_lshlrev_b64 v[79:80], 3, v[127:128]
	v_mov_b32_e32 v21, v133
	v_add_co_u32 v34, vcc_lo, v26, v34
	v_add_co_ci_u32_e32 v35, vcc_lo, v27, v35, vcc_lo
	v_lshlrev_b64 v[20:21], 3, v[20:21]
	v_mov_b32_e32 v130, v36
	v_add_co_u32 v20, vcc_lo, v26, v20
	v_add_co_ci_u32_e32 v21, vcc_lo, v27, v21, vcc_lo
	v_add_co_u32 v37, vcc_lo, v26, v37
	v_add_co_ci_u32_e32 v38, vcc_lo, v27, v38, vcc_lo
	;; [unrolled: 2-line block ×3, first 2 shown]
	s_waitcnt vmcnt(9)
	v_mul_f32_e32 v81, v4, v57
	v_mul_f32_e32 v88, v6, v59
	s_waitcnt lgkmcnt(7)
	v_mul_f32_e32 v57, v30, v57
	s_waitcnt lgkmcnt(6)
	v_mul_f32_e32 v59, v28, v59
	s_waitcnt vmcnt(8)
	v_mul_f32_e32 v125, v23, v45
	v_mul_f32_e32 v126, v25, v47
	s_waitcnt lgkmcnt(5)
	v_mul_f32_e32 v45, v33, v45
	s_waitcnt lgkmcnt(4)
	v_mul_f32_e32 v127, v95, v47
	s_waitcnt vmcnt(7)
	v_mul_f32_e32 v47, v22, v98
	v_mul_f32_e32 v128, v24, v100
	;; [unrolled: 1-line block ×4, first 2 shown]
	v_fma_f32 v30, v56, v30, -v81
	v_fma_f32 v28, v58, v28, -v88
	v_fmac_f32_e32 v57, v4, v56
	v_fmac_f32_e32 v59, v6, v58
	v_fma_f32 v4, v44, v33, -v125
	v_fma_f32 v6, v46, v95, -v126
	v_fmac_f32_e32 v45, v23, v44
	v_fmac_f32_e32 v127, v25, v46
	;; [unrolled: 4-line block ×3, first 2 shown]
	v_add_f32_e32 v22, v30, v28
	v_sub_f32_e32 v81, v57, v59
	s_waitcnt lgkmcnt(1)
	v_add_f32_e32 v32, v82, v30
	v_add_f32_e32 v44, v57, v59
	;; [unrolled: 1-line block ×4, first 2 shown]
	s_waitcnt lgkmcnt(0)
	v_add_f32_e32 v56, v83, v4
	v_add_f32_e32 v57, v45, v127
	;; [unrolled: 1-line block ×5, first 2 shown]
	v_sub_f32_e32 v30, v30, v28
	v_sub_f32_e32 v88, v45, v127
	;; [unrolled: 1-line block ×3, first 2 shown]
	v_add_f32_e32 v58, v54, v45
	v_sub_f32_e32 v95, v98, v100
	v_sub_f32_e32 v125, v23, v25
	v_add_f32_e32 v98, v53, v98
	v_fma_f32 v24, -0.5, v22, v82
	v_add_f32_e32 v33, v32, v28
	v_fma_f32 v23, -0.5, v44, v55
	v_fma_f32 v45, -0.5, v47, v83
	v_add_f32_e32 v47, v56, v6
	v_fma_f32 v44, -0.5, v57, v54
	;; [unrolled: 3-line block ×3, first 2 shown]
	s_waitcnt vmcnt(6)
	v_mul_f32_e32 v6, v17, v102
	v_mul_f32_e32 v22, v19, v104
	;; [unrolled: 1-line block ×4, first 2 shown]
	v_add_f32_e32 v32, v46, v59
	v_add_f32_e32 v46, v58, v127
	;; [unrolled: 1-line block ×3, first 2 shown]
	v_fmamk_f32 v58, v81, 0xbf5db3d7, v24
	v_fmac_f32_e32 v24, 0x3f5db3d7, v81
	v_fmamk_f32 v81, v4, 0x3f5db3d7, v44
	v_fmac_f32_e32 v44, 0xbf5db3d7, v4
	;; [unrolled: 2-line block ×4, first 2 shown]
	v_fma_f32 v1, v101, v1, -v6
	v_fma_f32 v3, v103, v3, -v22
	v_fmac_f32_e32 v25, v17, v101
	v_fmac_f32_e32 v28, v19, v103
	s_waitcnt vmcnt(5)
	v_mul_f32_e32 v4, v16, v106
	v_mul_f32_e32 v6, v18, v108
	;; [unrolled: 1-line block ×4, first 2 shown]
	v_fmamk_f32 v57, v30, 0x3f5db3d7, v23
	v_fmac_f32_e32 v23, 0xbf5db3d7, v30
	global_store_dwordx2 v[34:35], v[55:56], off
	global_store_dwordx2 v[20:21], v[53:54], off
	;; [unrolled: 1-line block ×3, first 2 shown]
	v_add_f32_e32 v20, v1, v3
	v_sub_f32_e32 v21, v25, v28
	v_add_f32_e32 v30, v25, v28
	v_add_f32_e32 v25, v52, v25
	v_fma_f32 v4, v105, v0, -v4
	v_fma_f32 v6, v107, v2, -v6
	v_fmac_f32_e32 v17, v16, v105
	v_fmac_f32_e32 v19, v18, v107
	s_waitcnt vmcnt(4)
	v_mul_f32_e32 v16, v13, v90
	v_mul_f32_e32 v18, v15, v92
	;; [unrolled: 1-line block ×4, first 2 shown]
	v_add_f32_e32 v22, v135, v1
	v_sub_f32_e32 v34, v1, v3
	v_fma_f32 v1, -0.5, v20, v135
	v_fma_f32 v0, -0.5, v30, v52
	v_add_f32_e32 v2, v25, v28
	v_add_f32_e32 v20, v4, v6
	;; [unrolled: 1-line block ×5, first 2 shown]
	v_fma_f32 v38, v89, v41, -v16
	v_fma_f32 v41, v91, v61, -v18
	v_fmac_f32_e32 v35, v13, v89
	v_fmac_f32_e32 v37, v15, v91
	s_waitcnt vmcnt(3)
	v_mul_f32_e32 v13, v12, v110
	v_mul_f32_e32 v52, v14, v112
	;; [unrolled: 1-line block ×4, first 2 shown]
	v_add_f32_e32 v3, v22, v3
	v_sub_f32_e32 v22, v17, v19
	v_sub_f32_e32 v4, v4, v6
	v_fmamk_f32 v16, v21, 0xbf5db3d7, v1
	v_fmac_f32_e32 v1, 0x3f5db3d7, v21
	v_fma_f32 v18, -0.5, v20, v136
	v_add_f32_e32 v20, v25, v6
	v_fma_f32 v17, -0.5, v28, v51
	v_add_f32_e32 v19, v30, v19
	v_add_f32_e32 v6, v38, v41
	;; [unrolled: 1-line block ×4, first 2 shown]
	v_sub_f32_e32 v30, v38, v41
	v_fma_f32 v38, v109, v40, -v13
	v_fma_f32 v40, v111, v60, -v52
	v_fmac_f32_e32 v53, v12, v109
	v_fmac_f32_e32 v54, v14, v111
	s_waitcnt vmcnt(2)
	v_mul_f32_e32 v14, v9, v114
	v_mul_f32_e32 v52, v85, v114
	;; [unrolled: 1-line block ×3, first 2 shown]
	v_fmamk_f32 v15, v34, 0x3f5db3d7, v0
	v_fmac_f32_e32 v0, 0xbf5db3d7, v34
	v_sub_f32_e32 v25, v35, v37
	v_add_f32_e32 v34, v50, v35
	v_mul_f32_e32 v51, v11, v116
	v_fmamk_f32 v13, v22, 0xbf5db3d7, v18
	v_fmac_f32_e32 v18, 0x3f5db3d7, v22
	v_fma_f32 v22, -0.5, v6, v137
	v_add_f32_e32 v35, v21, v41
	v_fma_f32 v21, -0.5, v28, v50
	v_sub_f32_e32 v6, v53, v54
	v_add_f32_e32 v28, v140, v38
	v_add_f32_e32 v56, v53, v54
	;; [unrolled: 1-line block ×3, first 2 shown]
	v_fma_f32 v14, v113, v85, -v14
	v_fmac_f32_e32 v52, v9, v113
	v_fmac_f32_e32 v55, v11, v115
	s_waitcnt vmcnt(1)
	v_mul_f32_e32 v9, v8, v118
	v_fmamk_f32 v12, v4, 0x3f5db3d7, v17
	v_fmac_f32_e32 v17, 0xbf5db3d7, v4
	v_add_f32_e32 v4, v38, v40
	v_mul_f32_e32 v11, v10, v120
	v_mul_f32_e32 v60, v84, v118
	;; [unrolled: 1-line block ×3, first 2 shown]
	v_add_f32_e32 v34, v34, v37
	v_sub_f32_e32 v59, v38, v40
	v_fma_f32 v51, v115, v87, -v51
	v_fmamk_f32 v37, v30, 0x3f5db3d7, v21
	v_fmac_f32_e32 v21, 0xbf5db3d7, v30
	v_add_f32_e32 v50, v28, v40
	v_fma_f32 v40, -0.5, v56, v49
	v_add_f32_e32 v49, v53, v54
	v_add_f32_e32 v28, v96, v14
	;; [unrolled: 1-line block ×4, first 2 shown]
	v_fma_f32 v54, v117, v84, -v9
	s_waitcnt vmcnt(0)
	v_mul_f32_e32 v83, v5, v122
	v_mul_f32_e32 v84, v7, v124
	v_fma_f32 v41, -0.5, v4, v140
	v_fma_f32 v56, v119, v86, -v11
	v_fmac_f32_e32 v60, v8, v117
	v_fmac_f32_e32 v61, v10, v119
	v_mul_f32_e32 v85, v31, v122
	v_fmamk_f32 v38, v25, 0xbf5db3d7, v22
	v_fmac_f32_e32 v22, 0x3f5db3d7, v25
	v_add_f32_e32 v4, v14, v51
	v_sub_f32_e32 v25, v52, v55
	v_sub_f32_e32 v14, v14, v51
	v_mul_f32_e32 v86, v29, v124
	v_add_f32_e32 v52, v28, v51
	v_fma_f32 v10, -0.5, v30, v48
	v_add_f32_e32 v51, v53, v55
	v_fma_f32 v31, v121, v31, -v83
	v_fma_f32 v55, v123, v29, -v84
	v_fmamk_f32 v9, v6, 0xbf5db3d7, v41
	v_fmac_f32_e32 v41, 0x3f5db3d7, v6
	v_add_f32_e32 v6, v54, v56
	v_add_f32_e32 v28, v138, v54
	;; [unrolled: 1-line block ×3, first 2 shown]
	v_fmac_f32_e32 v85, v5, v121
	v_fma_f32 v11, -0.5, v4, v96
	v_fmac_f32_e32 v86, v7, v123
	v_fmamk_f32 v4, v14, 0x3f5db3d7, v10
	v_fmac_f32_e32 v10, 0xbf5db3d7, v14
	v_add_f32_e32 v14, v31, v55
	v_fmamk_f32 v8, v59, 0x3f5db3d7, v40
	v_fmac_f32_e32 v40, 0xbf5db3d7, v59
	v_sub_f32_e32 v30, v60, v61
	v_sub_f32_e32 v53, v54, v56
	v_add_f32_e32 v54, v43, v60
	v_fma_f32 v7, -0.5, v6, v138
	v_add_f32_e32 v29, v28, v56
	v_fma_f32 v6, -0.5, v48, v43
	v_add_f32_e32 v56, v42, v85
	v_mad_u64_u32 v[83:84], null, s2, v77, 0
	v_fmamk_f32 v5, v25, 0xbf5db3d7, v11
	v_fmac_f32_e32 v11, 0x3f5db3d7, v25
	v_sub_f32_e32 v25, v85, v86
	v_fma_f32 v43, -0.5, v14, v139
	v_add_f32_e32 v28, v54, v61
	v_add_f32_e32 v48, v139, v31
	;; [unrolled: 1-line block ×3, first 2 shown]
	v_sub_f32_e32 v59, v31, v55
	v_fmamk_f32 v31, v30, 0xbf5db3d7, v7
	v_fmac_f32_e32 v7, 0x3f5db3d7, v30
	v_fmamk_f32 v30, v53, 0x3f5db3d7, v6
	v_fmac_f32_e32 v6, 0xbf5db3d7, v53
	v_add_f32_e32 v53, v56, v86
	v_mad_u64_u32 v[85:86], null, s3, v78, v[39:40]
	v_fmamk_f32 v56, v25, 0xbf5db3d7, v43
	v_fmac_f32_e32 v43, 0x3f5db3d7, v25
	v_mov_b32_e32 v25, v84
	v_fma_f32 v42, -0.5, v54, v42
	v_add_f32_e32 v54, v48, v55
	global_store_dwordx2 v[79:80], v[46:47], off
	v_mov_b32_e32 v132, v85
	v_mad_u64_u32 v[77:78], null, s3, v77, v[25:26]
	v_fmamk_f32 v55, v59, 0x3f5db3d7, v42
	v_fmac_f32_e32 v42, 0xbf5db3d7, v59
	v_mad_u64_u32 v[59:60], null, s2, v75, 0
	v_lshlrev_b64 v[46:47], 3, v[129:130]
	v_lshlrev_b64 v[78:79], 3, v[131:132]
	v_mov_b32_e32 v84, v77
	v_mad_u64_u32 v[85:86], null, s2, v76, 0
	v_fmamk_f32 v82, v88, 0xbf5db3d7, v45
	v_add_co_u32 v46, vcc_lo, v26, v46
	v_mov_b32_e32 v14, v60
	v_add_co_ci_u32_e32 v47, vcc_lo, v27, v47, vcc_lo
	v_add_co_u32 v77, vcc_lo, v26, v78
	v_add_co_ci_u32_e32 v78, vcc_lo, v27, v79, vcc_lo
	v_lshlrev_b64 v[79:80], 3, v[83:84]
	v_mad_u64_u32 v[83:84], null, s2, v72, 0
	v_mad_u64_u32 v[60:61], null, s3, v75, v[14:15]
	v_mov_b32_e32 v14, v86
	v_fmac_f32_e32 v45, 0x3f5db3d7, v88
	v_mul_hi_u32 v25, 0xc22e4507, v65
	v_mad_u64_u32 v[75:76], null, s3, v76, v[14:15]
	v_mov_b32_e32 v14, v84
	v_lshlrev_b64 v[59:60], 3, v[59:60]
	v_lshrrev_b32_e32 v25, 10, v25
	v_mad_u64_u32 v[87:88], null, s3, v72, v[14:15]
	v_mad_u64_u32 v[88:89], null, s2, v74, 0
	v_add_co_u32 v59, vcc_lo, v26, v59
	v_add_co_ci_u32_e32 v60, vcc_lo, v27, v60, vcc_lo
	v_add_co_u32 v79, vcc_lo, v26, v79
	v_mov_b32_e32 v86, v75
	v_add_co_ci_u32_e32 v80, vcc_lo, v27, v80, vcc_lo
	v_mov_b32_e32 v14, v89
	global_store_dwordx2 v[46:47], v[44:45], off
	global_store_dwordx2 v[77:78], v[81:82], off
	global_store_dwordx2 v[59:60], v[32:33], off
	global_store_dwordx2 v[79:80], v[23:24], off
	v_mov_b32_e32 v84, v87
	v_mad_u64_u32 v[32:33], null, s2, v73, 0
	v_lshlrev_b64 v[23:24], 3, v[85:86]
	v_mad_u64_u32 v[46:47], null, s3, v74, v[14:15]
	v_lshlrev_b64 v[44:45], 3, v[83:84]
	v_mad_u64_u32 v[47:48], null, s2, v69, 0
	v_add_co_u32 v23, vcc_lo, v26, v23
	v_mov_b32_e32 v14, v33
	v_add_co_ci_u32_e32 v24, vcc_lo, v27, v24, vcc_lo
	v_add_co_u32 v44, vcc_lo, v26, v44
	v_add_co_ci_u32_e32 v45, vcc_lo, v27, v45, vcc_lo
	v_mad_u64_u32 v[59:60], null, s3, v73, v[14:15]
	v_mov_b32_e32 v89, v46
	v_mov_b32_e32 v14, v48
	v_mad_u64_u32 v[60:61], null, s2, v71, 0
	global_store_dwordx2 v[23:24], v[57:58], off
	global_store_dwordx2 v[44:45], v[53:54], off
	v_lshlrev_b64 v[23:24], 3, v[88:89]
	v_mad_u64_u32 v[44:45], null, s3, v69, v[14:15]
	v_mov_b32_e32 v33, v59
	v_mov_b32_e32 v14, v61
	v_mad_u64_u32 v[45:46], null, s2, v70, 0
	v_add_co_u32 v23, vcc_lo, v26, v23
	v_add_co_ci_u32_e32 v24, vcc_lo, v27, v24, vcc_lo
	v_mov_b32_e32 v48, v44
	v_lshlrev_b64 v[32:33], 3, v[32:33]
	v_mad_u64_u32 v[53:54], null, s3, v71, v[14:15]
	global_store_dwordx2 v[23:24], v[42:43], off
	v_lshlrev_b64 v[23:24], 3, v[47:48]
	v_mov_b32_e32 v14, v46
	v_add_co_u32 v32, vcc_lo, v26, v32
	v_add_co_ci_u32_e32 v33, vcc_lo, v27, v33, vcc_lo
	v_add_co_u32 v23, vcc_lo, v26, v23
	v_mad_u64_u32 v[47:48], null, s2, v66, 0
	v_mov_b32_e32 v61, v53
	v_mad_u64_u32 v[42:43], null, s3, v70, v[14:15]
	v_add_co_ci_u32_e32 v24, vcc_lo, v27, v24, vcc_lo
	global_store_dwordx2 v[32:33], v[55:56], off
	global_store_dwordx2 v[23:24], v[28:29], off
	v_mad_u64_u32 v[32:33], null, s2, v68, 0
	v_lshlrev_b64 v[43:44], 3, v[60:61]
	v_mov_b32_e32 v14, v48
	v_mov_b32_e32 v46, v42
	v_mad_u32_u24 v36, 0xa8c, v25, v65
	v_add_co_u32 v23, vcc_lo, v26, v43
	v_mad_u64_u32 v[42:43], null, s3, v66, v[14:15]
	v_mov_b32_e32 v14, v33
	v_add_co_ci_u32_e32 v24, vcc_lo, v27, v44, vcc_lo
	v_lshlrev_b64 v[28:29], 3, v[45:46]
	v_mad_u64_u32 v[43:44], null, s2, v67, 0
	v_mad_u64_u32 v[45:46], null, s3, v68, v[14:15]
	global_store_dwordx2 v[23:24], v[6:7], off
	v_add_co_u32 v28, vcc_lo, v26, v28
	v_add_co_ci_u32_e32 v29, vcc_lo, v27, v29, vcc_lo
	v_mov_b32_e32 v14, v44
	v_mad_u64_u32 v[23:24], null, s2, v36, 0
	v_mov_b32_e32 v48, v42
	v_mov_b32_e32 v33, v45
	global_store_dwordx2 v[28:29], v[30:31], off
	v_mad_u64_u32 v[28:29], null, s3, v67, v[14:15]
	v_lshlrev_b64 v[6:7], 3, v[47:48]
	v_mov_b32_e32 v14, v24
	v_lshlrev_b64 v[24:25], 3, v[32:33]
	v_add_nc_u32_e32 v33, 0x546, v36
	v_mov_b32_e32 v44, v28
	v_mad_u64_u32 v[28:29], null, s3, v36, v[14:15]
	v_mad_u64_u32 v[29:30], null, s2, v33, 0
	v_add_co_u32 v6, vcc_lo, v26, v6
	v_add_co_ci_u32_e32 v7, vcc_lo, v27, v7, vcc_lo
	v_add_co_u32 v31, vcc_lo, v26, v24
	v_add_co_ci_u32_e32 v32, vcc_lo, v27, v25, vcc_lo
	global_store_dwordx2 v[6:7], v[51:52], off
	v_lshlrev_b64 v[6:7], 3, v[43:44]
	v_mov_b32_e32 v14, v30
	v_mul_hi_u32 v25, 0xc22e4507, v64
	v_mov_b32_e32 v24, v28
	v_add_nc_u32_e32 v28, 0xa8c, v36
	global_store_dwordx2 v[31:32], v[10:11], off
	v_mad_u64_u32 v[42:43], null, s3, v33, v[14:15]
	v_add_co_u32 v6, vcc_lo, v26, v6
	v_add_co_ci_u32_e32 v7, vcc_lo, v27, v7, vcc_lo
	v_lshrrev_b32_e32 v14, 10, v25
	v_lshlrev_b64 v[23:24], 3, v[23:24]
	v_mad_u64_u32 v[43:44], null, s2, v28, 0
	v_mov_b32_e32 v30, v42
	global_store_dwordx2 v[6:7], v[4:5], off
	v_mad_u32_u24 v7, 0xa8c, v14, v64
	v_add_co_u32 v23, vcc_lo, v26, v23
	v_lshlrev_b64 v[5:6], 3, v[29:30]
	v_add_co_ci_u32_e32 v24, vcc_lo, v27, v24, vcc_lo
	v_mad_u64_u32 v[10:11], null, s2, v7, 0
	v_mov_b32_e32 v4, v44
	v_add_nc_u32_e32 v14, 0x546, v7
	global_store_dwordx2 v[23:24], v[49:50], off
	v_add_nc_u32_e32 v30, 0xa8c, v7
	v_mad_u64_u32 v[23:24], null, s3, v28, v[4:5]
	v_add_co_u32 v4, vcc_lo, v26, v5
	v_add_co_ci_u32_e32 v5, vcc_lo, v27, v6, vcc_lo
	v_mov_b32_e32 v6, v11
	v_mad_u64_u32 v[24:25], null, s2, v14, 0
	v_mov_b32_e32 v44, v23
	v_mul_hi_u32 v23, 0xc22e4507, v63
	v_mad_u64_u32 v[6:7], null, s3, v7, v[6:7]
	v_mad_u64_u32 v[28:29], null, s2, v30, 0
	v_mov_b32_e32 v7, v25
	global_store_dwordx2 v[4:5], v[40:41], off
	v_lshlrev_b64 v[4:5], 3, v[43:44]
	v_mov_b32_e32 v11, v6
	v_mad_u64_u32 v[6:7], null, s3, v14, v[7:8]
	v_lshrrev_b32_e32 v14, 10, v23
	v_mov_b32_e32 v7, v29
	v_lshlrev_b64 v[10:11], 3, v[10:11]
	v_add_co_u32 v4, vcc_lo, v26, v4
	v_mad_u32_u24 v14, 0xa8c, v14, v63
	v_add_co_ci_u32_e32 v5, vcc_lo, v27, v5, vcc_lo
	v_mad_u64_u32 v[29:30], null, s3, v30, v[7:8]
	v_mad_u64_u32 v[30:31], null, s2, v14, 0
	v_mov_b32_e32 v25, v6
	v_add_co_u32 v6, vcc_lo, v26, v10
	v_add_co_ci_u32_e32 v7, vcc_lo, v27, v11, vcc_lo
	global_store_dwordx2 v[4:5], v[8:9], off
	v_mov_b32_e32 v4, v31
	v_lshlrev_b64 v[8:9], 3, v[24:25]
	global_store_dwordx2 v[6:7], v[34:35], off
	v_lshlrev_b64 v[5:6], 3, v[28:29]
	v_mul_hi_u32 v23, 0xc22e4507, v62
	v_add_co_u32 v7, vcc_lo, v26, v8
	v_mad_u64_u32 v[10:11], null, s3, v14, v[4:5]
	v_add_nc_u32_e32 v11, 0x546, v14
	v_add_co_ci_u32_e32 v8, vcc_lo, v27, v9, vcc_lo
	v_add_co_u32 v4, vcc_lo, v26, v5
	v_add_co_ci_u32_e32 v5, vcc_lo, v27, v6, vcc_lo
	v_mov_b32_e32 v31, v10
	v_mad_u64_u32 v[9:10], null, s2, v11, 0
	v_lshrrev_b32_e32 v6, 10, v23
	v_add_nc_u32_e32 v14, 0xa8c, v14
	global_store_dwordx2 v[7:8], v[21:22], off
	global_store_dwordx2 v[4:5], v[37:38], off
	v_lshlrev_b64 v[4:5], 3, v[30:31]
	v_mad_u32_u24 v25, 0xa8c, v6, v62
	v_mov_b32_e32 v8, v10
	v_mad_u64_u32 v[6:7], null, s2, v14, 0
	v_mad_u64_u32 v[21:22], null, s2, v25, 0
	;; [unrolled: 1-line block ×3, first 2 shown]
	v_add_nc_u32_e32 v11, 0x546, v25
	v_mad_u64_u32 v[7:8], null, s3, v14, v[7:8]
	v_add_co_u32 v4, vcc_lo, v26, v4
	v_mov_b32_e32 v8, v22
	v_mad_u64_u32 v[23:24], null, s2, v11, 0
	v_add_nc_u32_e32 v14, 0xa8c, v25
	v_add_co_ci_u32_e32 v5, vcc_lo, v27, v5, vcc_lo
	v_mad_u64_u32 v[28:29], null, s3, v25, v[8:9]
	v_mad_u64_u32 v[29:30], null, s2, v14, 0
	global_store_dwordx2 v[4:5], v[19:20], off
	v_mov_b32_e32 v4, v24
	v_lshlrev_b64 v[6:7], 3, v[6:7]
	v_lshlrev_b64 v[8:9], 3, v[9:10]
	v_mov_b32_e32 v22, v28
	v_mad_u64_u32 v[4:5], null, s3, v11, v[4:5]
	v_mov_b32_e32 v5, v30
	v_add_co_u32 v8, vcc_lo, v26, v8
	v_lshlrev_b64 v[19:20], 3, v[21:22]
	v_add_co_ci_u32_e32 v9, vcc_lo, v27, v9, vcc_lo
	v_mad_u64_u32 v[10:11], null, s3, v14, v[5:6]
	v_mov_b32_e32 v24, v4
	v_add_co_u32 v4, vcc_lo, v26, v6
	v_add_co_ci_u32_e32 v5, vcc_lo, v27, v7, vcc_lo
	v_lshlrev_b64 v[6:7], 3, v[23:24]
	v_mov_b32_e32 v30, v10
	v_add_co_u32 v10, vcc_lo, v26, v19
	v_add_co_ci_u32_e32 v11, vcc_lo, v27, v20, vcc_lo
	v_lshlrev_b64 v[19:20], 3, v[29:30]
	v_add_co_u32 v6, vcc_lo, v26, v6
	v_add_co_ci_u32_e32 v7, vcc_lo, v27, v7, vcc_lo
	v_add_co_u32 v19, vcc_lo, v26, v19
	v_add_co_ci_u32_e32 v20, vcc_lo, v27, v20, vcc_lo
	global_store_dwordx2 v[8:9], v[17:18], off
	global_store_dwordx2 v[4:5], v[12:13], off
	;; [unrolled: 1-line block ×5, first 2 shown]
.LBB0_15:
	s_endpgm
	.section	.rodata,"a",@progbits
	.p2align	6, 0x0
	.amdhsa_kernel fft_rtc_back_len4050_factors_10_5_3_3_3_3_wgs_135_tpt_135_halfLds_sp_ip_CI_sbrr_dirReg
		.amdhsa_group_segment_fixed_size 0
		.amdhsa_private_segment_fixed_size 0
		.amdhsa_kernarg_size 88
		.amdhsa_user_sgpr_count 6
		.amdhsa_user_sgpr_private_segment_buffer 1
		.amdhsa_user_sgpr_dispatch_ptr 0
		.amdhsa_user_sgpr_queue_ptr 0
		.amdhsa_user_sgpr_kernarg_segment_ptr 1
		.amdhsa_user_sgpr_dispatch_id 0
		.amdhsa_user_sgpr_flat_scratch_init 0
		.amdhsa_user_sgpr_private_segment_size 0
		.amdhsa_wavefront_size32 1
		.amdhsa_uses_dynamic_stack 0
		.amdhsa_system_sgpr_private_segment_wavefront_offset 0
		.amdhsa_system_sgpr_workgroup_id_x 1
		.amdhsa_system_sgpr_workgroup_id_y 0
		.amdhsa_system_sgpr_workgroup_id_z 0
		.amdhsa_system_sgpr_workgroup_info 0
		.amdhsa_system_vgpr_workitem_id 0
		.amdhsa_next_free_vgpr 172
		.amdhsa_next_free_sgpr 23
		.amdhsa_reserve_vcc 1
		.amdhsa_reserve_flat_scratch 0
		.amdhsa_float_round_mode_32 0
		.amdhsa_float_round_mode_16_64 0
		.amdhsa_float_denorm_mode_32 3
		.amdhsa_float_denorm_mode_16_64 3
		.amdhsa_dx10_clamp 1
		.amdhsa_ieee_mode 1
		.amdhsa_fp16_overflow 0
		.amdhsa_workgroup_processor_mode 1
		.amdhsa_memory_ordered 1
		.amdhsa_forward_progress 0
		.amdhsa_shared_vgpr_count 0
		.amdhsa_exception_fp_ieee_invalid_op 0
		.amdhsa_exception_fp_denorm_src 0
		.amdhsa_exception_fp_ieee_div_zero 0
		.amdhsa_exception_fp_ieee_overflow 0
		.amdhsa_exception_fp_ieee_underflow 0
		.amdhsa_exception_fp_ieee_inexact 0
		.amdhsa_exception_int_div_zero 0
	.end_amdhsa_kernel
	.text
.Lfunc_end0:
	.size	fft_rtc_back_len4050_factors_10_5_3_3_3_3_wgs_135_tpt_135_halfLds_sp_ip_CI_sbrr_dirReg, .Lfunc_end0-fft_rtc_back_len4050_factors_10_5_3_3_3_3_wgs_135_tpt_135_halfLds_sp_ip_CI_sbrr_dirReg
                                        ; -- End function
	.section	.AMDGPU.csdata,"",@progbits
; Kernel info:
; codeLenInByte = 21828
; NumSgprs: 25
; NumVgprs: 172
; ScratchSize: 0
; MemoryBound: 0
; FloatMode: 240
; IeeeMode: 1
; LDSByteSize: 0 bytes/workgroup (compile time only)
; SGPRBlocks: 3
; VGPRBlocks: 21
; NumSGPRsForWavesPerEU: 25
; NumVGPRsForWavesPerEU: 172
; Occupancy: 5
; WaveLimiterHint : 1
; COMPUTE_PGM_RSRC2:SCRATCH_EN: 0
; COMPUTE_PGM_RSRC2:USER_SGPR: 6
; COMPUTE_PGM_RSRC2:TRAP_HANDLER: 0
; COMPUTE_PGM_RSRC2:TGID_X_EN: 1
; COMPUTE_PGM_RSRC2:TGID_Y_EN: 0
; COMPUTE_PGM_RSRC2:TGID_Z_EN: 0
; COMPUTE_PGM_RSRC2:TIDIG_COMP_CNT: 0
	.text
	.p2alignl 6, 3214868480
	.fill 48, 4, 3214868480
	.type	__hip_cuid_c2b452ea192c27a3,@object ; @__hip_cuid_c2b452ea192c27a3
	.section	.bss,"aw",@nobits
	.globl	__hip_cuid_c2b452ea192c27a3
__hip_cuid_c2b452ea192c27a3:
	.byte	0                               ; 0x0
	.size	__hip_cuid_c2b452ea192c27a3, 1

	.ident	"AMD clang version 19.0.0git (https://github.com/RadeonOpenCompute/llvm-project roc-6.4.0 25133 c7fe45cf4b819c5991fe208aaa96edf142730f1d)"
	.section	".note.GNU-stack","",@progbits
	.addrsig
	.addrsig_sym __hip_cuid_c2b452ea192c27a3
	.amdgpu_metadata
---
amdhsa.kernels:
  - .args:
      - .actual_access:  read_only
        .address_space:  global
        .offset:         0
        .size:           8
        .value_kind:     global_buffer
      - .offset:         8
        .size:           8
        .value_kind:     by_value
      - .actual_access:  read_only
        .address_space:  global
        .offset:         16
        .size:           8
        .value_kind:     global_buffer
      - .actual_access:  read_only
        .address_space:  global
        .offset:         24
        .size:           8
        .value_kind:     global_buffer
      - .offset:         32
        .size:           8
        .value_kind:     by_value
      - .actual_access:  read_only
        .address_space:  global
        .offset:         40
        .size:           8
        .value_kind:     global_buffer
      - .actual_access:  read_only
        .address_space:  global
        .offset:         48
        .size:           8
        .value_kind:     global_buffer
      - .offset:         56
        .size:           4
        .value_kind:     by_value
      - .actual_access:  read_only
        .address_space:  global
        .offset:         64
        .size:           8
        .value_kind:     global_buffer
      - .actual_access:  read_only
        .address_space:  global
        .offset:         72
        .size:           8
        .value_kind:     global_buffer
      - .address_space:  global
        .offset:         80
        .size:           8
        .value_kind:     global_buffer
    .group_segment_fixed_size: 0
    .kernarg_segment_align: 8
    .kernarg_segment_size: 88
    .language:       OpenCL C
    .language_version:
      - 2
      - 0
    .max_flat_workgroup_size: 135
    .name:           fft_rtc_back_len4050_factors_10_5_3_3_3_3_wgs_135_tpt_135_halfLds_sp_ip_CI_sbrr_dirReg
    .private_segment_fixed_size: 0
    .sgpr_count:     25
    .sgpr_spill_count: 0
    .symbol:         fft_rtc_back_len4050_factors_10_5_3_3_3_3_wgs_135_tpt_135_halfLds_sp_ip_CI_sbrr_dirReg.kd
    .uniform_work_group_size: 1
    .uses_dynamic_stack: false
    .vgpr_count:     172
    .vgpr_spill_count: 0
    .wavefront_size: 32
    .workgroup_processor_mode: 1
amdhsa.target:   amdgcn-amd-amdhsa--gfx1030
amdhsa.version:
  - 1
  - 2
...

	.end_amdgpu_metadata
